;; amdgpu-corpus repo=ROCm/rocFFT kind=compiled arch=gfx1201 opt=O3
	.text
	.amdgcn_target "amdgcn-amd-amdhsa--gfx1201"
	.amdhsa_code_object_version 6
	.protected	fft_rtc_back_len1920_factors_10_6_16_2_wgs_240_tpt_120_halfLds_half_ip_CI_unitstride_sbrr_C2R_dirReg ; -- Begin function fft_rtc_back_len1920_factors_10_6_16_2_wgs_240_tpt_120_halfLds_half_ip_CI_unitstride_sbrr_C2R_dirReg
	.globl	fft_rtc_back_len1920_factors_10_6_16_2_wgs_240_tpt_120_halfLds_half_ip_CI_unitstride_sbrr_C2R_dirReg
	.p2align	8
	.type	fft_rtc_back_len1920_factors_10_6_16_2_wgs_240_tpt_120_halfLds_half_ip_CI_unitstride_sbrr_C2R_dirReg,@function
fft_rtc_back_len1920_factors_10_6_16_2_wgs_240_tpt_120_halfLds_half_ip_CI_unitstride_sbrr_C2R_dirReg: ; @fft_rtc_back_len1920_factors_10_6_16_2_wgs_240_tpt_120_halfLds_half_ip_CI_unitstride_sbrr_C2R_dirReg
; %bb.0:
	s_clause 0x2
	s_load_b128 s[4:7], s[0:1], 0x0
	s_load_b64 s[8:9], s[0:1], 0x50
	s_load_b64 s[10:11], s[0:1], 0x18
	v_mul_u32_u24_e32 v1, 0x223, v0
	v_mov_b32_e32 v3, 0
	s_delay_alu instid0(VALU_DEP_2) | instskip(SKIP_2) | instid1(VALU_DEP_4)
	v_lshrrev_b32_e32 v9, 16, v1
	v_mov_b32_e32 v1, 0
	v_mov_b32_e32 v2, 0
	;; [unrolled: 1-line block ×3, first 2 shown]
	s_delay_alu instid0(VALU_DEP_4) | instskip(SKIP_2) | instid1(VALU_DEP_1)
	v_lshl_add_u32 v5, ttmp9, 1, v9
	s_wait_kmcnt 0x0
	v_cmp_lt_u64_e64 s2, s[6:7], 2
	s_and_b32 vcc_lo, exec_lo, s2
	s_cbranch_vccnz .LBB0_8
; %bb.1:
	s_load_b64 s[2:3], s[0:1], 0x10
	v_mov_b32_e32 v1, 0
	v_mov_b32_e32 v2, 0
	s_add_nc_u64 s[12:13], s[10:11], 8
	s_mov_b64 s[14:15], 1
	s_wait_kmcnt 0x0
	s_add_nc_u64 s[16:17], s[2:3], 8
	s_mov_b32 s3, 0
.LBB0_2:                                ; =>This Inner Loop Header: Depth=1
	s_load_b64 s[18:19], s[16:17], 0x0
                                        ; implicit-def: $vgpr7_vgpr8
	s_mov_b32 s2, exec_lo
	s_wait_kmcnt 0x0
	v_or_b32_e32 v4, s19, v6
	s_delay_alu instid0(VALU_DEP_1)
	v_cmpx_ne_u64_e32 0, v[3:4]
	s_wait_alu 0xfffe
	s_xor_b32 s20, exec_lo, s2
	s_cbranch_execz .LBB0_4
; %bb.3:                                ;   in Loop: Header=BB0_2 Depth=1
	s_cvt_f32_u32 s2, s18
	s_cvt_f32_u32 s21, s19
	s_sub_nc_u64 s[24:25], 0, s[18:19]
	s_wait_alu 0xfffe
	s_delay_alu instid0(SALU_CYCLE_1) | instskip(SKIP_1) | instid1(SALU_CYCLE_2)
	s_fmamk_f32 s2, s21, 0x4f800000, s2
	s_wait_alu 0xfffe
	v_s_rcp_f32 s2, s2
	s_delay_alu instid0(TRANS32_DEP_1) | instskip(SKIP_1) | instid1(SALU_CYCLE_2)
	s_mul_f32 s2, s2, 0x5f7ffffc
	s_wait_alu 0xfffe
	s_mul_f32 s21, s2, 0x2f800000
	s_wait_alu 0xfffe
	s_delay_alu instid0(SALU_CYCLE_2) | instskip(SKIP_1) | instid1(SALU_CYCLE_2)
	s_trunc_f32 s21, s21
	s_wait_alu 0xfffe
	s_fmamk_f32 s2, s21, 0xcf800000, s2
	s_cvt_u32_f32 s23, s21
	s_wait_alu 0xfffe
	s_delay_alu instid0(SALU_CYCLE_1) | instskip(SKIP_1) | instid1(SALU_CYCLE_2)
	s_cvt_u32_f32 s22, s2
	s_wait_alu 0xfffe
	s_mul_u64 s[26:27], s[24:25], s[22:23]
	s_wait_alu 0xfffe
	s_mul_hi_u32 s29, s22, s27
	s_mul_i32 s28, s22, s27
	s_mul_hi_u32 s2, s22, s26
	s_mul_i32 s30, s23, s26
	s_wait_alu 0xfffe
	s_add_nc_u64 s[28:29], s[2:3], s[28:29]
	s_mul_hi_u32 s21, s23, s26
	s_mul_hi_u32 s31, s23, s27
	s_add_co_u32 s2, s28, s30
	s_wait_alu 0xfffe
	s_add_co_ci_u32 s2, s29, s21
	s_mul_i32 s26, s23, s27
	s_add_co_ci_u32 s27, s31, 0
	s_wait_alu 0xfffe
	s_add_nc_u64 s[26:27], s[2:3], s[26:27]
	s_wait_alu 0xfffe
	v_add_co_u32 v4, s2, s22, s26
	s_delay_alu instid0(VALU_DEP_1) | instskip(SKIP_1) | instid1(VALU_DEP_1)
	s_cmp_lg_u32 s2, 0
	s_add_co_ci_u32 s23, s23, s27
	v_readfirstlane_b32 s22, v4
	s_wait_alu 0xfffe
	s_delay_alu instid0(VALU_DEP_1)
	s_mul_u64 s[24:25], s[24:25], s[22:23]
	s_wait_alu 0xfffe
	s_mul_hi_u32 s27, s22, s25
	s_mul_i32 s26, s22, s25
	s_mul_hi_u32 s2, s22, s24
	s_mul_i32 s28, s23, s24
	s_wait_alu 0xfffe
	s_add_nc_u64 s[26:27], s[2:3], s[26:27]
	s_mul_hi_u32 s21, s23, s24
	s_mul_hi_u32 s22, s23, s25
	s_wait_alu 0xfffe
	s_add_co_u32 s2, s26, s28
	s_add_co_ci_u32 s2, s27, s21
	s_mul_i32 s24, s23, s25
	s_add_co_ci_u32 s25, s22, 0
	s_wait_alu 0xfffe
	s_add_nc_u64 s[24:25], s[2:3], s[24:25]
	s_wait_alu 0xfffe
	v_add_co_u32 v4, s2, v4, s24
	s_delay_alu instid0(VALU_DEP_1) | instskip(SKIP_1) | instid1(VALU_DEP_1)
	s_cmp_lg_u32 s2, 0
	s_add_co_ci_u32 s2, s23, s25
	v_mul_hi_u32 v14, v5, v4
	s_wait_alu 0xfffe
	v_mad_co_u64_u32 v[7:8], null, v5, s2, 0
	v_mad_co_u64_u32 v[10:11], null, v6, v4, 0
	;; [unrolled: 1-line block ×3, first 2 shown]
	s_delay_alu instid0(VALU_DEP_3) | instskip(SKIP_1) | instid1(VALU_DEP_4)
	v_add_co_u32 v4, vcc_lo, v14, v7
	s_wait_alu 0xfffd
	v_add_co_ci_u32_e32 v7, vcc_lo, 0, v8, vcc_lo
	s_delay_alu instid0(VALU_DEP_2) | instskip(SKIP_1) | instid1(VALU_DEP_2)
	v_add_co_u32 v4, vcc_lo, v4, v10
	s_wait_alu 0xfffd
	v_add_co_ci_u32_e32 v4, vcc_lo, v7, v11, vcc_lo
	s_wait_alu 0xfffd
	v_add_co_ci_u32_e32 v7, vcc_lo, 0, v13, vcc_lo
	s_delay_alu instid0(VALU_DEP_2) | instskip(SKIP_1) | instid1(VALU_DEP_2)
	v_add_co_u32 v4, vcc_lo, v4, v12
	s_wait_alu 0xfffd
	v_add_co_ci_u32_e32 v10, vcc_lo, 0, v7, vcc_lo
	s_delay_alu instid0(VALU_DEP_2) | instskip(SKIP_1) | instid1(VALU_DEP_3)
	v_mul_lo_u32 v11, s19, v4
	v_mad_co_u64_u32 v[7:8], null, s18, v4, 0
	v_mul_lo_u32 v12, s18, v10
	s_delay_alu instid0(VALU_DEP_2) | instskip(NEXT) | instid1(VALU_DEP_2)
	v_sub_co_u32 v7, vcc_lo, v5, v7
	v_add3_u32 v8, v8, v12, v11
	s_delay_alu instid0(VALU_DEP_1) | instskip(SKIP_1) | instid1(VALU_DEP_1)
	v_sub_nc_u32_e32 v11, v6, v8
	s_wait_alu 0xfffd
	v_subrev_co_ci_u32_e64 v11, s2, s19, v11, vcc_lo
	v_add_co_u32 v12, s2, v4, 2
	s_wait_alu 0xf1ff
	v_add_co_ci_u32_e64 v13, s2, 0, v10, s2
	v_sub_co_u32 v14, s2, v7, s18
	v_sub_co_ci_u32_e32 v8, vcc_lo, v6, v8, vcc_lo
	s_wait_alu 0xf1ff
	v_subrev_co_ci_u32_e64 v11, s2, 0, v11, s2
	s_delay_alu instid0(VALU_DEP_3) | instskip(NEXT) | instid1(VALU_DEP_3)
	v_cmp_le_u32_e32 vcc_lo, s18, v14
	v_cmp_eq_u32_e64 s2, s19, v8
	s_wait_alu 0xfffd
	v_cndmask_b32_e64 v14, 0, -1, vcc_lo
	v_cmp_le_u32_e32 vcc_lo, s19, v11
	s_wait_alu 0xfffd
	v_cndmask_b32_e64 v15, 0, -1, vcc_lo
	v_cmp_le_u32_e32 vcc_lo, s18, v7
	;; [unrolled: 3-line block ×3, first 2 shown]
	s_wait_alu 0xfffd
	v_cndmask_b32_e64 v16, 0, -1, vcc_lo
	v_cmp_eq_u32_e32 vcc_lo, s19, v11
	s_wait_alu 0xf1ff
	s_delay_alu instid0(VALU_DEP_2)
	v_cndmask_b32_e64 v7, v16, v7, s2
	s_wait_alu 0xfffd
	v_cndmask_b32_e32 v11, v15, v14, vcc_lo
	v_add_co_u32 v14, vcc_lo, v4, 1
	s_wait_alu 0xfffd
	v_add_co_ci_u32_e32 v15, vcc_lo, 0, v10, vcc_lo
	s_delay_alu instid0(VALU_DEP_3) | instskip(SKIP_1) | instid1(VALU_DEP_2)
	v_cmp_ne_u32_e32 vcc_lo, 0, v11
	s_wait_alu 0xfffd
	v_dual_cndmask_b32 v8, v15, v13 :: v_dual_cndmask_b32 v11, v14, v12
	v_cmp_ne_u32_e32 vcc_lo, 0, v7
	s_wait_alu 0xfffd
	s_delay_alu instid0(VALU_DEP_2)
	v_dual_cndmask_b32 v8, v10, v8 :: v_dual_cndmask_b32 v7, v4, v11
.LBB0_4:                                ;   in Loop: Header=BB0_2 Depth=1
	s_wait_alu 0xfffe
	s_and_not1_saveexec_b32 s2, s20
	s_cbranch_execz .LBB0_6
; %bb.5:                                ;   in Loop: Header=BB0_2 Depth=1
	v_cvt_f32_u32_e32 v4, s18
	s_sub_co_i32 s20, 0, s18
	s_delay_alu instid0(VALU_DEP_1) | instskip(NEXT) | instid1(TRANS32_DEP_1)
	v_rcp_iflag_f32_e32 v4, v4
	v_mul_f32_e32 v4, 0x4f7ffffe, v4
	s_delay_alu instid0(VALU_DEP_1) | instskip(SKIP_1) | instid1(VALU_DEP_1)
	v_cvt_u32_f32_e32 v4, v4
	s_wait_alu 0xfffe
	v_mul_lo_u32 v7, s20, v4
	s_delay_alu instid0(VALU_DEP_1) | instskip(NEXT) | instid1(VALU_DEP_1)
	v_mul_hi_u32 v7, v4, v7
	v_add_nc_u32_e32 v4, v4, v7
	s_delay_alu instid0(VALU_DEP_1) | instskip(NEXT) | instid1(VALU_DEP_1)
	v_mul_hi_u32 v4, v5, v4
	v_mul_lo_u32 v7, v4, s18
	v_add_nc_u32_e32 v8, 1, v4
	s_delay_alu instid0(VALU_DEP_2) | instskip(NEXT) | instid1(VALU_DEP_1)
	v_sub_nc_u32_e32 v7, v5, v7
	v_subrev_nc_u32_e32 v10, s18, v7
	v_cmp_le_u32_e32 vcc_lo, s18, v7
	s_wait_alu 0xfffd
	s_delay_alu instid0(VALU_DEP_2) | instskip(NEXT) | instid1(VALU_DEP_1)
	v_dual_cndmask_b32 v7, v7, v10 :: v_dual_cndmask_b32 v4, v4, v8
	v_cmp_le_u32_e32 vcc_lo, s18, v7
	s_delay_alu instid0(VALU_DEP_2) | instskip(SKIP_1) | instid1(VALU_DEP_1)
	v_add_nc_u32_e32 v8, 1, v4
	s_wait_alu 0xfffd
	v_dual_cndmask_b32 v7, v4, v8 :: v_dual_mov_b32 v8, v3
.LBB0_6:                                ;   in Loop: Header=BB0_2 Depth=1
	s_wait_alu 0xfffe
	s_or_b32 exec_lo, exec_lo, s2
	s_load_b64 s[20:21], s[12:13], 0x0
	s_delay_alu instid0(VALU_DEP_1)
	v_mul_lo_u32 v4, v8, s18
	v_mul_lo_u32 v12, v7, s19
	v_mad_co_u64_u32 v[10:11], null, v7, s18, 0
	s_add_nc_u64 s[14:15], s[14:15], 1
	s_add_nc_u64 s[12:13], s[12:13], 8
	s_wait_alu 0xfffe
	v_cmp_ge_u64_e64 s2, s[14:15], s[6:7]
	s_add_nc_u64 s[16:17], s[16:17], 8
	s_delay_alu instid0(VALU_DEP_2) | instskip(NEXT) | instid1(VALU_DEP_3)
	v_add3_u32 v4, v11, v12, v4
	v_sub_co_u32 v5, vcc_lo, v5, v10
	s_wait_alu 0xfffd
	s_delay_alu instid0(VALU_DEP_2) | instskip(SKIP_3) | instid1(VALU_DEP_2)
	v_sub_co_ci_u32_e32 v4, vcc_lo, v6, v4, vcc_lo
	s_and_b32 vcc_lo, exec_lo, s2
	s_wait_kmcnt 0x0
	v_mul_lo_u32 v6, s21, v5
	v_mul_lo_u32 v4, s20, v4
	v_mad_co_u64_u32 v[1:2], null, s20, v5, v[1:2]
	s_delay_alu instid0(VALU_DEP_1)
	v_add3_u32 v2, v6, v2, v4
	s_wait_alu 0xfffe
	s_cbranch_vccnz .LBB0_9
; %bb.7:                                ;   in Loop: Header=BB0_2 Depth=1
	v_dual_mov_b32 v5, v7 :: v_dual_mov_b32 v6, v8
	s_branch .LBB0_2
.LBB0_8:
	v_dual_mov_b32 v8, v6 :: v_dual_mov_b32 v7, v5
.LBB0_9:
	s_lshl_b64 s[2:3], s[6:7], 3
	v_mul_hi_u32 v3, 0x2222223, v0
	s_wait_alu 0xfffe
	s_add_nc_u64 s[2:3], s[10:11], s[2:3]
	v_and_b32_e32 v6, 1, v9
	s_load_b64 s[2:3], s[2:3], 0x0
	s_load_b64 s[0:1], s[0:1], 0x20
	s_delay_alu instid0(VALU_DEP_2) | instskip(SKIP_4) | instid1(VALU_DEP_1)
	v_mul_u32_u24_e32 v3, 0x78, v3
	s_wait_kmcnt 0x0
	v_mul_lo_u32 v4, s2, v8
	v_mul_lo_u32 v5, s3, v7
	v_mad_co_u64_u32 v[1:2], null, s2, v7, v[1:2]
	v_add3_u32 v2, v5, v2, v4
	v_mov_b32_e32 v5, 0
	v_cmp_eq_u32_e32 vcc_lo, 1, v6
	v_sub_nc_u32_e32 v4, v0, v3
	s_delay_alu instid0(VALU_DEP_4) | instskip(SKIP_4) | instid1(VALU_DEP_3)
	v_lshlrev_b64_e32 v[2:3], 2, v[1:2]
	s_wait_alu 0xfffd
	v_cndmask_b32_e64 v14, 0, 0x781, vcc_lo
	v_cmp_gt_u64_e32 vcc_lo, s[0:1], v[7:8]
	v_mov_b32_e32 v0, v4
	v_lshlrev_b32_e32 v26, 2, v14
	s_and_saveexec_b32 s1, vcc_lo
	s_cbranch_execz .LBB0_13
; %bb.10:
	v_lshlrev_b64_e32 v[6:7], 2, v[4:5]
	v_add_co_u32 v0, s0, s8, v2
	s_wait_alu 0xf1ff
	v_add_co_ci_u32_e64 v1, s0, s9, v3, s0
	s_mov_b32 s2, exec_lo
	s_delay_alu instid0(VALU_DEP_2) | instskip(SKIP_1) | instid1(VALU_DEP_2)
	v_add_co_u32 v6, s0, v0, v6
	s_wait_alu 0xf1ff
	v_add_co_ci_u32_e64 v7, s0, v1, v7, s0
	s_clause 0xf
	global_load_b32 v8, v[6:7], off
	global_load_b32 v9, v[6:7], off offset:480
	global_load_b32 v10, v[6:7], off offset:960
	;; [unrolled: 1-line block ×15, first 2 shown]
	v_lshlrev_b32_e32 v6, 2, v4
	s_delay_alu instid0(VALU_DEP_1) | instskip(NEXT) | instid1(VALU_DEP_1)
	v_add3_u32 v7, 0, v26, v6
	v_dual_mov_b32 v6, v5 :: v_dual_add_nc_u32 v25, 0x200, v7
	v_mov_b32_e32 v5, v4
	v_add_nc_u32_e32 v27, 0x600, v7
	v_add_nc_u32_e32 v28, 0xa00, v7
	;; [unrolled: 1-line block ×6, first 2 shown]
	s_wait_loadcnt 0xe
	ds_store_2addr_b32 v7, v8, v9 offset1:120
	s_wait_loadcnt 0xc
	ds_store_2addr_b32 v25, v10, v11 offset0:112 offset1:232
	s_wait_loadcnt 0xa
	ds_store_2addr_b32 v27, v12, v13 offset0:96 offset1:216
	;; [unrolled: 2-line block ×7, first 2 shown]
	v_cmpx_eq_u32_e32 0x77, v4
	s_cbranch_execz .LBB0_12
; %bb.11:
	global_load_b32 v0, v[0:1], off offset:7680
	v_dual_mov_b32 v5, 0x77 :: v_dual_mov_b32 v4, 0x77
	v_mov_b32_e32 v6, 0
	s_wait_loadcnt 0x0
	ds_store_b32 v7, v0 offset:7204
.LBB0_12:
	s_wait_alu 0xfffe
	s_or_b32 exec_lo, exec_lo, s2
	v_mov_b32_e32 v0, v4
	v_mov_b32_e32 v4, v5
	;; [unrolled: 1-line block ×3, first 2 shown]
.LBB0_13:
	s_wait_alu 0xfffe
	s_or_b32 exec_lo, exec_lo, s1
	v_lshl_add_u32 v24, v14, 2, 0
	v_lshlrev_b32_e32 v1, 2, v0
	global_wb scope:SCOPE_SE
	s_wait_dscnt 0x0
	s_barrier_signal -1
	s_barrier_wait -1
	global_inv scope:SCOPE_SE
	v_add_nc_u32_e32 v25, v24, v1
	v_sub_nc_u32_e32 v8, v24, v1
	v_lshlrev_b64_e32 v[4:5], 2, v[4:5]
	s_mov_b32 s1, exec_lo
	ds_load_u16 v1, v25
	ds_load_u16 v6, v8 offset:7680
	s_wait_dscnt 0x0
	v_add_f16_e32 v9, v6, v1
	v_sub_f16_e32 v10, v1, v6
	v_cmpx_ne_u32_e32 0, v0
	s_wait_alu 0xfffe
	s_xor_b32 s1, exec_lo, s1
	s_cbranch_execz .LBB0_15
; %bb.14:
	v_add_co_u32 v9, s0, s4, v4
	s_wait_alu 0xf1ff
	v_add_co_ci_u32_e64 v10, s0, s5, v5, s0
	v_add_f16_e32 v11, v6, v1
	v_sub_f16_e32 v1, v1, v6
	global_load_b32 v7, v[9:10], off offset:7640
	ds_load_u16 v9, v8 offset:7682
	ds_load_u16 v10, v25 offset:2
	s_wait_dscnt 0x0
	v_add_f16_e32 v6, v9, v10
	v_sub_f16_e32 v9, v10, v9
	s_wait_loadcnt 0x0
	v_lshrrev_b32_e32 v12, 16, v7
	s_delay_alu instid0(VALU_DEP_1) | instskip(NEXT) | instid1(VALU_DEP_3)
	v_fma_f16 v13, -v1, v12, v11
	v_fma_f16 v15, v6, v12, -v9
	v_fma_f16 v11, v1, v12, v11
	v_fma_f16 v10, v6, v12, v9
	s_delay_alu instid0(VALU_DEP_4) | instskip(NEXT) | instid1(VALU_DEP_4)
	v_fmac_f16_e32 v13, v7, v6
	v_fmac_f16_e32 v15, v1, v7
	s_delay_alu instid0(VALU_DEP_4) | instskip(NEXT) | instid1(VALU_DEP_4)
	v_fma_f16 v9, -v7, v6, v11
	v_fmac_f16_e32 v10, v1, v7
	s_delay_alu instid0(VALU_DEP_3)
	v_pack_b32_f16 v6, v13, v15
	ds_store_b32 v8, v6 offset:7680
.LBB0_15:
	s_wait_alu 0xfffe
	s_and_not1_saveexec_b32 s0, s1
	s_cbranch_execz .LBB0_17
; %bb.16:
	ds_load_b32 v1, v24 offset:3840
	s_wait_dscnt 0x0
	v_pk_mul_f16 v1, 0xc0004000, v1
	ds_store_b32 v24, v1 offset:3840
.LBB0_17:
	s_wait_alu 0xfffe
	s_or_b32 exec_lo, exec_lo, s0
	v_mov_b32_e32 v1, 0
	s_add_nc_u64 s[0:1], s[4:5], 0x1dd8
	v_perm_b32 v9, v10, v9, 0x5040100
	s_delay_alu instid0(VALU_DEP_2) | instskip(SKIP_1) | instid1(VALU_DEP_1)
	v_lshlrev_b64_e32 v[6:7], 2, v[0:1]
	s_wait_alu 0xfffe
	v_add_co_u32 v11, s0, s0, v6
	s_wait_alu 0xf1ff
	s_delay_alu instid0(VALU_DEP_2)
	v_add_co_ci_u32_e64 v12, s0, s1, v7, s0
	v_cmp_gt_u32_e64 s0, 0x48, v0
	s_clause 0x5
	global_load_b32 v1, v[11:12], off offset:480
	global_load_b32 v13, v[11:12], off offset:960
	;; [unrolled: 1-line block ×6, first 2 shown]
	ds_store_b32 v25, v9
	global_load_b32 v9, v[11:12], off offset:3360
	ds_load_b32 v10, v25 offset:480
	ds_load_b32 v11, v8 offset:7200
	s_wait_dscnt 0x1
	v_lshrrev_b32_e32 v12, 16, v10
	s_wait_dscnt 0x0
	v_lshrrev_b32_e32 v19, 16, v11
	v_add_f16_e32 v20, v10, v11
	v_sub_f16_e32 v10, v10, v11
	s_delay_alu instid0(VALU_DEP_3) | instskip(SKIP_3) | instid1(VALU_DEP_1)
	v_add_f16_e32 v11, v19, v12
	v_sub_f16_e32 v12, v12, v19
	s_wait_loadcnt 0x6
	v_lshrrev_b32_e32 v21, 16, v1
	v_fma_f16 v19, v10, v21, v20
	s_delay_alu instid0(VALU_DEP_3) | instskip(SKIP_2) | instid1(VALU_DEP_4)
	v_fma_f16 v22, v11, v21, v12
	v_fma_f16 v20, -v10, v21, v20
	v_fma_f16 v12, v11, v21, -v12
	v_fma_f16 v19, -v1, v11, v19
	s_delay_alu instid0(VALU_DEP_4) | instskip(NEXT) | instid1(VALU_DEP_4)
	v_fmac_f16_e32 v22, v10, v1
	v_fmac_f16_e32 v20, v1, v11
	s_delay_alu instid0(VALU_DEP_4) | instskip(NEXT) | instid1(VALU_DEP_3)
	v_fmac_f16_e32 v12, v10, v1
	v_pack_b32_f16 v1, v19, v22
	s_wait_loadcnt 0x5
	v_lshrrev_b32_e32 v19, 16, v13
	s_delay_alu instid0(VALU_DEP_3)
	v_pack_b32_f16 v10, v20, v12
	ds_store_b32 v25, v1 offset:480
	ds_store_b32 v8, v10 offset:7200
	ds_load_b32 v1, v25 offset:960
	ds_load_b32 v10, v8 offset:6720
	s_wait_dscnt 0x1
	v_lshrrev_b32_e32 v11, 16, v1
	s_wait_dscnt 0x0
	v_lshrrev_b32_e32 v12, 16, v10
	v_add_f16_e32 v20, v1, v10
	v_sub_f16_e32 v1, v1, v10
	s_delay_alu instid0(VALU_DEP_3) | instskip(SKIP_1) | instid1(VALU_DEP_3)
	v_add_f16_e32 v10, v12, v11
	v_sub_f16_e32 v11, v11, v12
	v_fma_f16 v12, v1, v19, v20
	v_fma_f16 v20, -v1, v19, v20
	s_delay_alu instid0(VALU_DEP_3) | instskip(SKIP_1) | instid1(VALU_DEP_4)
	v_fma_f16 v21, v10, v19, v11
	v_fma_f16 v11, v10, v19, -v11
	v_fma_f16 v12, -v13, v10, v12
	s_delay_alu instid0(VALU_DEP_4) | instskip(NEXT) | instid1(VALU_DEP_4)
	v_fmac_f16_e32 v20, v13, v10
	v_fmac_f16_e32 v21, v1, v13
	s_delay_alu instid0(VALU_DEP_4) | instskip(SKIP_2) | instid1(VALU_DEP_3)
	v_fmac_f16_e32 v11, v1, v13
	s_wait_loadcnt 0x4
	v_lshrrev_b32_e32 v13, 16, v15
	v_pack_b32_f16 v1, v12, v21
	s_delay_alu instid0(VALU_DEP_3)
	v_pack_b32_f16 v10, v20, v11
	ds_store_b32 v25, v1 offset:960
	ds_store_b32 v8, v10 offset:6720
	ds_load_b32 v1, v25 offset:1440
	ds_load_b32 v10, v8 offset:6240
	s_wait_dscnt 0x1
	v_lshrrev_b32_e32 v11, 16, v1
	s_wait_dscnt 0x0
	v_lshrrev_b32_e32 v12, 16, v10
	v_add_f16_e32 v19, v1, v10
	v_sub_f16_e32 v1, v1, v10
	s_delay_alu instid0(VALU_DEP_3) | instskip(SKIP_1) | instid1(VALU_DEP_3)
	v_add_f16_e32 v10, v12, v11
	v_sub_f16_e32 v11, v11, v12
	v_fma_f16 v12, v1, v13, v19
	v_fma_f16 v19, -v1, v13, v19
	s_delay_alu instid0(VALU_DEP_3) | instskip(SKIP_1) | instid1(VALU_DEP_4)
	v_fma_f16 v20, v10, v13, v11
	v_fma_f16 v11, v10, v13, -v11
	v_fma_f16 v12, -v15, v10, v12
	s_delay_alu instid0(VALU_DEP_4) | instskip(SKIP_4) | instid1(VALU_DEP_2)
	v_fmac_f16_e32 v19, v15, v10
	s_wait_loadcnt 0x3
	v_lshrrev_b32_e32 v13, 16, v16
	v_fmac_f16_e32 v20, v1, v15
	v_fmac_f16_e32 v11, v1, v15
	v_pack_b32_f16 v1, v12, v20
	s_delay_alu instid0(VALU_DEP_2)
	v_pack_b32_f16 v10, v19, v11
	ds_store_b32 v25, v1 offset:1440
	ds_store_b32 v8, v10 offset:6240
	ds_load_b32 v1, v25 offset:1920
	ds_load_b32 v10, v8 offset:5760
	s_wait_dscnt 0x1
	v_lshrrev_b32_e32 v11, 16, v1
	s_wait_dscnt 0x0
	v_lshrrev_b32_e32 v12, 16, v10
	v_add_f16_e32 v15, v1, v10
	v_sub_f16_e32 v1, v1, v10
	s_delay_alu instid0(VALU_DEP_3) | instskip(SKIP_1) | instid1(VALU_DEP_3)
	v_add_f16_e32 v10, v12, v11
	v_sub_f16_e32 v11, v11, v12
	v_fma_f16 v12, v1, v13, v15
	v_fma_f16 v15, -v1, v13, v15
	s_delay_alu instid0(VALU_DEP_3) | instskip(SKIP_1) | instid1(VALU_DEP_4)
	v_fma_f16 v19, v10, v13, v11
	v_fma_f16 v11, v10, v13, -v11
	v_fma_f16 v12, -v16, v10, v12
	s_delay_alu instid0(VALU_DEP_4) | instskip(SKIP_4) | instid1(VALU_DEP_2)
	v_fmac_f16_e32 v15, v16, v10
	s_wait_loadcnt 0x2
	v_lshrrev_b32_e32 v13, 16, v17
	v_fmac_f16_e32 v19, v1, v16
	v_fmac_f16_e32 v11, v1, v16
	v_pack_b32_f16 v1, v12, v19
	s_delay_alu instid0(VALU_DEP_2)
	v_pack_b32_f16 v10, v15, v11
	ds_store_b32 v25, v1 offset:1920
	ds_store_b32 v8, v10 offset:5760
	ds_load_b32 v1, v25 offset:2400
	ds_load_b32 v10, v8 offset:5280
	s_wait_dscnt 0x1
	v_lshrrev_b32_e32 v11, 16, v1
	s_wait_dscnt 0x0
	v_lshrrev_b32_e32 v12, 16, v10
	v_add_f16_e32 v15, v1, v10
	v_sub_f16_e32 v1, v1, v10
	s_delay_alu instid0(VALU_DEP_3) | instskip(SKIP_1) | instid1(VALU_DEP_3)
	v_add_f16_e32 v10, v12, v11
	v_sub_f16_e32 v11, v11, v12
	v_fma_f16 v12, v1, v13, v15
	v_fma_f16 v15, -v1, v13, v15
	s_delay_alu instid0(VALU_DEP_3) | instskip(SKIP_1) | instid1(VALU_DEP_4)
	v_fma_f16 v16, v10, v13, v11
	v_fma_f16 v11, v10, v13, -v11
	v_fma_f16 v12, -v17, v10, v12
	s_delay_alu instid0(VALU_DEP_4)
	v_fmac_f16_e32 v15, v17, v10
	s_wait_loadcnt 0x1
	v_lshrrev_b32_e32 v13, 16, v18
	v_fmac_f16_e32 v16, v1, v17
	v_fmac_f16_e32 v11, v1, v17
	v_lshl_add_u32 v17, v0, 2, 0
	s_delay_alu instid0(VALU_DEP_3) | instskip(NEXT) | instid1(VALU_DEP_3)
	v_pack_b32_f16 v1, v12, v16
	v_pack_b32_f16 v10, v15, v11
	ds_store_b32 v25, v1 offset:2400
	ds_store_b32 v8, v10 offset:5280
	ds_load_b32 v1, v25 offset:2880
	ds_load_b32 v10, v8 offset:4800
	s_wait_dscnt 0x1
	v_lshrrev_b32_e32 v11, 16, v1
	s_wait_dscnt 0x0
	v_lshrrev_b32_e32 v12, 16, v10
	v_add_f16_e32 v15, v1, v10
	v_sub_f16_e32 v1, v1, v10
	s_delay_alu instid0(VALU_DEP_3) | instskip(SKIP_1) | instid1(VALU_DEP_3)
	v_add_f16_e32 v10, v12, v11
	v_sub_f16_e32 v11, v11, v12
	v_fma_f16 v12, v1, v13, v15
	v_fma_f16 v15, -v1, v13, v15
	s_delay_alu instid0(VALU_DEP_3) | instskip(SKIP_1) | instid1(VALU_DEP_4)
	v_fma_f16 v16, v10, v13, v11
	v_fma_f16 v11, v10, v13, -v11
	v_fma_f16 v12, -v18, v10, v12
	s_delay_alu instid0(VALU_DEP_4) | instskip(SKIP_4) | instid1(VALU_DEP_2)
	v_fmac_f16_e32 v15, v18, v10
	s_wait_loadcnt 0x0
	v_lshrrev_b32_e32 v13, 16, v9
	v_fmac_f16_e32 v16, v1, v18
	v_fmac_f16_e32 v11, v1, v18
	v_pack_b32_f16 v1, v12, v16
	s_delay_alu instid0(VALU_DEP_2)
	v_pack_b32_f16 v10, v15, v11
	ds_store_b32 v25, v1 offset:2880
	ds_store_b32 v8, v10 offset:4800
	ds_load_b32 v1, v25 offset:3360
	ds_load_b32 v10, v8 offset:4320
	s_wait_dscnt 0x1
	v_lshrrev_b32_e32 v11, 16, v1
	s_wait_dscnt 0x0
	v_lshrrev_b32_e32 v12, 16, v10
	v_add_f16_e32 v15, v1, v10
	v_sub_f16_e32 v10, v1, v10
	s_delay_alu instid0(VALU_DEP_3) | instskip(SKIP_1) | instid1(VALU_DEP_3)
	v_add_f16_e32 v16, v12, v11
	v_sub_f16_e32 v1, v11, v12
	v_fma_f16 v11, v10, v13, v15
	v_fma_f16 v12, -v10, v13, v15
	s_delay_alu instid0(VALU_DEP_3)
	v_fma_f16 v15, v16, v13, v1
	v_fma_f16 v13, v16, v13, -v1
	v_add_nc_u32_e32 v1, v17, v26
	v_fma_f16 v11, -v9, v16, v11
	v_fmac_f16_e32 v12, v9, v16
	v_fmac_f16_e32 v15, v10, v9
	;; [unrolled: 1-line block ×3, first 2 shown]
	v_add_nc_u32_e32 v16, 0x600, v1
	v_add_nc_u32_e32 v29, 0x1000, v1
	;; [unrolled: 1-line block ×3, first 2 shown]
	v_pack_b32_f16 v9, v11, v15
	v_add_nc_u32_e32 v11, 0xc00, v1
	v_pack_b32_f16 v10, v12, v13
	v_add_nc_u32_e32 v12, 0x1200, v1
	v_add_nc_u32_e32 v15, 0x1800, v1
	ds_store_b32 v25, v9 offset:3360
	ds_store_b32 v8, v10 offset:4320
	global_wb scope:SCOPE_SE
	s_wait_dscnt 0x0
	s_barrier_signal -1
	s_barrier_wait -1
	global_inv scope:SCOPE_SE
	global_wb scope:SCOPE_SE
	s_barrier_signal -1
	s_barrier_wait -1
	global_inv scope:SCOPE_SE
	ds_load_2addr_b32 v[8:9], v11 offset0:120 offset1:192
	ds_load_2addr_b32 v[10:11], v12 offset0:120 offset1:192
	;; [unrolled: 1-line block ×4, first 2 shown]
	v_add_nc_u32_e32 v16, 0x400, v1
	v_mad_u32_u24 v15, v0, 36, v17
	v_add_nc_u32_e32 v17, 0xa00, v1
	ds_load_2addr_b32 v[18:19], v1 offset0:120 offset1:192
	ds_load_2addr_b32 v[20:21], v16 offset0:56 offset1:128
	;; [unrolled: 1-line block ×5, first 2 shown]
	ds_load_b32 v33, v1 offset:7392
	ds_load_b32 v34, v25
	v_add_nc_u32_e32 v38, v15, v26
	global_wb scope:SCOPE_SE
	s_wait_dscnt 0x0
	s_barrier_signal -1
	s_barrier_wait -1
	global_inv scope:SCOPE_SE
	v_lshrrev_b32_e32 v37, 16, v8
	v_add_f16_e32 v17, v8, v10
	v_lshrrev_b32_e32 v35, 16, v12
	v_lshrrev_b32_e32 v36, 16, v27
	;; [unrolled: 1-line block ×3, first 2 shown]
	v_sub_f16_e32 v40, v27, v10
	v_sub_f16_e32 v41, v12, v8
	v_add_f16_e32 v42, v12, v27
	v_sub_f16_e32 v43, v10, v27
	v_sub_f16_e32 v44, v8, v12
	v_pk_add_f16 v45, v18, v12
	v_add_f16_e32 v47, v29, v31
	v_lshrrev_b32_e32 v48, 16, v22
	v_lshrrev_b32_e32 v49, 16, v33
	;; [unrolled: 1-line block ×4, first 2 shown]
	v_sub_f16_e32 v52, v33, v31
	v_sub_f16_e32 v53, v22, v29
	v_add_f16_e32 v54, v22, v33
	v_sub_f16_e32 v55, v31, v33
	v_sub_f16_e32 v56, v29, v22
	v_pk_add_f16 v57, v20, v22
	v_sub_f16_e32 v59, v22, v33
	v_add_f16_e32 v22, v23, v30
	v_lshrrev_b32_e32 v61, 16, v21
	v_lshrrev_b32_e32 v62, 16, v32
	;; [unrolled: 1-line block ×4, first 2 shown]
	v_sub_f16_e32 v65, v32, v30
	v_sub_f16_e32 v66, v21, v23
	v_add_f16_e32 v67, v21, v32
	v_sub_f16_e32 v68, v30, v32
	v_sub_f16_e32 v69, v23, v21
	v_pk_add_f16 v70, v34, v21
	v_sub_f16_e32 v72, v21, v32
	v_add_f16_e32 v21, v9, v11
	v_lshrrev_b32_e32 v76, 16, v9
	v_lshrrev_b32_e32 v77, 16, v11
	v_pk_add_f16 v83, v19, v13
	v_lshrrev_b32_e32 v74, 16, v13
	v_lshrrev_b32_e32 v75, 16, v28
	v_sub_f16_e32 v78, v28, v11
	v_sub_f16_e32 v79, v13, v9
	v_add_f16_e32 v80, v13, v28
	v_lshrrev_b32_e32 v16, 16, v18
	v_sub_f16_e32 v46, v8, v10
	v_sub_f16_e32 v60, v29, v31
	v_lshrrev_b32_e32 v71, 16, v34
	v_sub_f16_e32 v73, v23, v30
	v_sub_f16_e32 v82, v9, v13
	v_lshrrev_b32_e32 v84, 16, v19
	v_sub_f16_e32 v85, v9, v11
	v_fma_f16 v17, -0.5, v17, v18
	v_sub_f16_e32 v86, v35, v36
	v_sub_f16_e32 v87, v37, v39
	v_add_f16_e32 v40, v41, v40
	v_fma_f16 v18, -0.5, v42, v18
	v_add_f16_e32 v41, v44, v43
	v_pk_add_f16 v8, v45, v8
	v_add_f16_e32 v42, v37, v39
	v_sub_f16_e32 v43, v35, v37
	v_sub_f16_e32 v44, v36, v39
	v_add_f16_e32 v45, v35, v36
	v_sub_f16_e32 v35, v37, v35
	v_sub_f16_e32 v36, v39, v36
	v_fma_f16 v39, -0.5, v47, v20
	v_sub_f16_e32 v37, v48, v49
	v_sub_f16_e32 v47, v50, v51
	v_add_f16_e32 v52, v53, v52
	v_fma_f16 v53, -0.5, v54, v20
	v_add_f16_e32 v54, v56, v55
	v_pk_add_f16 v29, v57, v29
	v_add_f16_e32 v55, v50, v51
	v_sub_f16_e32 v56, v48, v50
	v_sub_f16_e32 v57, v49, v51
	v_add_f16_e32 v88, v48, v49
	v_sub_f16_e32 v48, v50, v48
	v_sub_f16_e32 v49, v51, v49
	v_fma_f16 v50, -0.5, v22, v34
	v_sub_f16_e32 v51, v61, v62
	v_sub_f16_e32 v89, v63, v64
	v_add_f16_e32 v65, v66, v65
	v_fma_f16 v66, -0.5, v67, v34
	v_add_f16_e32 v34, v69, v68
	v_pk_add_f16 v22, v70, v23
	v_add_f16_e32 v23, v63, v64
	v_sub_f16_e32 v67, v61, v63
	v_add_f16_e32 v69, v61, v62
	v_sub_f16_e32 v61, v63, v61
	v_fma_f16 v63, -0.5, v21, v19
	v_pk_add_f16 v9, v83, v9
	v_add_f16_e32 v21, v76, v77
	v_lshrrev_b32_e32 v58, 16, v20
	v_sub_f16_e32 v68, v62, v64
	v_sub_f16_e32 v62, v64, v62
	;; [unrolled: 1-line block ×4, first 2 shown]
	v_add_f16_e32 v78, v79, v78
	v_fma_f16 v79, -0.5, v80, v19
	v_add_f16_e32 v83, v74, v75
	v_sub_f16_e32 v81, v11, v28
	v_sub_f16_e32 v13, v13, v28
	v_pk_add_f16 v8, v8, v10
	v_add_f16_e32 v10, v43, v44
	v_add_f16_e32 v44, v48, v49
	v_fmamk_f16 v48, v89, 0x3b9c, v66
	v_fmac_f16_e32 v66, 0xbb9c, v89
	v_pk_add_f16 v9, v9, v11
	v_fma_f16 v11, -0.5, v21, v84
	v_sub_f16_e32 v12, v12, v27
	v_fma_f16 v20, -0.5, v42, v16
	v_add_f16_e32 v35, v35, v36
	v_pk_add_f16 v29, v29, v31
	v_fma_f16 v31, -0.5, v55, v58
	v_add_f16_e32 v36, v56, v57
	v_fmac_f16_e32 v58, -0.5, v88
	v_add_f16_e32 v56, v61, v62
	v_fmamk_f16 v57, v64, 0xbb9c, v63
	v_fmamk_f16 v61, v70, 0x3b9c, v79
	v_fmac_f16_e32 v79, 0xbb9c, v70
	v_fmac_f16_e32 v84, -0.5, v83
	v_add_f16_e32 v80, v82, v81
	v_sub_f16_e32 v81, v74, v76
	v_sub_f16_e32 v82, v75, v77
	v_fmac_f16_e32 v16, -0.5, v45
	v_fmamk_f16 v45, v51, 0xbb9c, v50
	v_fmac_f16_e32 v50, 0x3b9c, v51
	v_fmac_f16_e32 v48, 0xb8b4, v51
	;; [unrolled: 1-line block ×3, first 2 shown]
	v_fmamk_f16 v51, v13, 0x3b9c, v11
	v_sub_f16_e32 v74, v76, v74
	v_sub_f16_e32 v75, v77, v75
	v_fmamk_f16 v42, v37, 0xbb9c, v39
	v_fmac_f16_e32 v39, 0x3b9c, v37
	v_pk_add_f16 v30, v22, v30
	v_fma_f16 v49, -0.5, v23, v71
	v_fmac_f16_e32 v71, -0.5, v69
	v_fmac_f16_e32 v63, 0x3b9c, v64
	v_pk_add_f16 v21, v8, v27
	v_fmamk_f16 v22, v12, 0x3b9c, v20
	v_fmac_f16_e32 v20, 0xbb9c, v12
	v_fmamk_f16 v27, v60, 0xbb9c, v58
	v_fmac_f16_e32 v57, 0xb8b4, v70
	v_fmac_f16_e32 v61, 0xb8b4, v64
	;; [unrolled: 1-line block ×3, first 2 shown]
	v_fmamk_f16 v64, v85, 0xbb9c, v84
	v_fmac_f16_e32 v84, 0x3b9c, v85
	v_fmac_f16_e32 v58, 0x3b9c, v60
	;; [unrolled: 1-line block ×3, first 2 shown]
	v_add_f16_e32 v62, v81, v82
	v_fmamk_f16 v8, v59, 0x3b9c, v31
	v_fmac_f16_e32 v31, 0xbb9c, v59
	v_fmac_f16_e32 v51, 0x38b4, v85
	v_fmamk_f16 v43, v47, 0x3b9c, v53
	v_fmac_f16_e32 v53, 0xbb9c, v47
	v_add_f16_e32 v55, v67, v68
	v_add_f16_e32 v67, v74, v75
	v_fmac_f16_e32 v42, 0xb8b4, v47
	v_fmac_f16_e32 v39, 0x38b4, v47
	v_fmamk_f16 v47, v73, 0xbb9c, v71
	v_fmac_f16_e32 v71, 0x3b9c, v73
	v_fmac_f16_e32 v22, 0x38b4, v46
	;; [unrolled: 1-line block ×7, first 2 shown]
	v_pk_add_f16 v23, v29, v33
	v_pk_add_f16 v29, v30, v32
	v_fmamk_f16 v30, v72, 0x3b9c, v49
	v_fmac_f16_e32 v49, 0xbb9c, v72
	v_fmac_f16_e32 v58, 0xb8b4, v59
	;; [unrolled: 1-line block ×3, first 2 shown]
	v_fmamk_f16 v68, v46, 0xbb9c, v16
	v_fmac_f16_e32 v16, 0x3b9c, v46
	v_fmac_f16_e32 v8, 0x38b4, v60
	;; [unrolled: 1-line block ×13, first 2 shown]
	v_mul_f16_e32 v10, 0x38b4, v57
	v_fmac_f16_e32 v63, 0x38b4, v70
	v_fmac_f16_e32 v30, 0x38b4, v73
	;; [unrolled: 1-line block ×5, first 2 shown]
	v_fmamk_f16 v19, v86, 0xbb9c, v17
	v_fmac_f16_e32 v17, 0x3b9c, v86
	v_fmamk_f16 v76, v87, 0x3b9c, v18
	v_fmac_f16_e32 v18, 0xbb9c, v87
	v_fmac_f16_e32 v45, 0xb8b4, v89
	;; [unrolled: 1-line block ×7, first 2 shown]
	v_mul_f16_e32 v46, 0xb8b4, v51
	v_fmac_f16_e32 v39, 0x34f2, v52
	v_fmac_f16_e32 v43, 0x34f2, v54
	;; [unrolled: 1-line block ×7, first 2 shown]
	v_mul_f16_e32 v44, 0x34f2, v27
	v_mul_f16_e32 v52, 0xbb9c, v64
	;; [unrolled: 1-line block ×3, first 2 shown]
	v_fmac_f16_e32 v10, 0x3a79, v51
	v_mul_f16_e32 v51, 0x34f2, v64
	v_mul_f16_e32 v56, 0xb4f2, v84
	v_fmac_f16_e32 v50, 0x38b4, v89
	v_fmac_f16_e32 v48, 0x34f2, v34
	;; [unrolled: 1-line block ×6, first 2 shown]
	v_mul_f16_e32 v34, 0xbb9c, v58
	v_mul_f16_e32 v36, 0xb4f2, v58
	;; [unrolled: 1-line block ×4, first 2 shown]
	v_fmac_f16_e32 v19, 0xb8b4, v87
	v_fmac_f16_e32 v17, 0x38b4, v87
	;; [unrolled: 1-line block ×7, first 2 shown]
	v_mul_f16_e32 v32, 0x38b4, v42
	v_mul_f16_e32 v33, 0xb8b4, v8
	;; [unrolled: 1-line block ×5, first 2 shown]
	v_fmac_f16_e32 v46, 0x3a79, v57
	v_fmac_f16_e32 v44, 0x3b9c, v43
	;; [unrolled: 1-line block ×9, first 2 shown]
	v_pk_add_f16 v28, v9, v28
	v_fmac_f16_e32 v19, 0x34f2, v40
	v_fmac_f16_e32 v17, 0x34f2, v40
	v_fmac_f16_e32 v76, 0x34f2, v41
	v_fmac_f16_e32 v18, 0x34f2, v41
	v_fmac_f16_e32 v32, 0x3a79, v8
	v_fmac_f16_e32 v33, 0x3a79, v42
	v_fmac_f16_e32 v13, 0x34f2, v43
	v_fmac_f16_e32 v34, 0xb4f2, v53
	v_fmac_f16_e32 v35, 0xba79, v39
	v_fmac_f16_e32 v36, 0x3b9c, v53
	v_fmac_f16_e32 v37, 0x38b4, v39
	v_add_f16_e32 v39, v30, v10
	v_add_f16_e32 v43, v45, v46
	;; [unrolled: 1-line block ×3, first 2 shown]
	v_sub_f16_e32 v31, v68, v44
	v_add_f16_e32 v44, v48, v52
	v_add_f16_e32 v53, v66, v54
	;; [unrolled: 1-line block ×6, first 2 shown]
	v_sub_f16_e32 v42, v30, v10
	v_sub_f16_e32 v45, v45, v46
	;; [unrolled: 1-line block ×8, first 2 shown]
	v_pk_add_f16 v9, v21, v23 neg_lo:[0,1] neg_hi:[0,1]
	v_pk_add_f16 v40, v29, v28
	v_pk_add_f16 v41, v29, v28 neg_lo:[0,1] neg_hi:[0,1]
	v_sub_f16_e32 v28, v22, v32
	v_add_f16_e32 v10, v76, v13
	v_add_f16_e32 v11, v18, v34
	;; [unrolled: 1-line block ×5, first 2 shown]
	v_sub_f16_e32 v12, v19, v33
	v_sub_f16_e32 v13, v76, v13
	v_pack_b32_f16 v39, v43, v39
	v_pack_b32_f16 v43, v53, v60
	v_pack_b32_f16 v44, v44, v59
	v_pack_b32_f16 v52, v57, v61
	v_pack_b32_f16 v46, v46, v47
	v_pack_b32_f16 v42, v45, v42
	v_pack_b32_f16 v45, v50, v49
	v_pack_b32_f16 v47, v48, v51
	ds_store_2addr_b32 v38, v40, v39 offset1:1
	ds_store_2addr_b32 v38, v44, v43 offset0:2 offset1:3
	ds_store_2addr_b32 v38, v52, v41 offset0:4 offset1:5
	;; [unrolled: 1-line block ×4, first 2 shown]
	s_and_saveexec_b32 s1, s0
	s_cbranch_execz .LBB0_19
; %bb.18:
	v_lshl_add_u32 v14, v14, 2, v15
	v_add_f16_e32 v15, v22, v32
	v_add_f16_e32 v19, v19, v33
	v_sub_f16_e32 v20, v20, v37
	v_sub_f16_e32 v16, v16, v36
	;; [unrolled: 1-line block ×4, first 2 shown]
	v_add_nc_u32_e32 v22, 0x12c0, v14
	v_pk_add_f16 v21, v21, v23
	v_pack_b32_f16 v15, v19, v15
	v_add_nc_u32_e32 v19, 0x12c8, v14
	v_perm_b32 v23, v29, v11, 0x5040100
	v_perm_b32 v32, v27, v10, 0x5040100
	v_add_nc_u32_e32 v33, 0x12d0, v14
	v_perm_b32 v34, v30, v8, 0x5040100
	v_add_nc_u32_e32 v35, 0x12d8, v14
	v_perm_b32 v36, v31, v13, 0x5040100
	v_perm_b32 v37, v28, v12, 0x5040100
	v_add_nc_u32_e32 v14, 0x12e0, v14
	v_pack_b32_f16 v17, v17, v20
	v_pack_b32_f16 v16, v18, v16
	ds_store_2addr_b32 v22, v21, v15 offset1:1
	ds_store_2addr_b32 v19, v32, v23 offset1:1
	;; [unrolled: 1-line block ×5, first 2 shown]
.LBB0_19:
	s_wait_alu 0xfffe
	s_or_b32 exec_lo, exec_lo, s1
	v_add_nc_u32_e32 v14, 0x180, v1
	v_add_nc_u32_e32 v16, 0x680, v1
	v_add_nc_u32_e32 v17, 0xb80, v1
	v_add_nc_u32_e32 v18, 0x1080, v1
	v_add_nc_u32_e32 v32, 0x1580, v1
	global_wb scope:SCOPE_SE
	s_wait_dscnt 0x0
	s_barrier_signal -1
	s_barrier_wait -1
	global_inv scope:SCOPE_SE
	ds_load_2addr_b32 v[14:15], v14 offset0:24 offset1:224
	ds_load_2addr_b32 v[22:23], v16 offset0:24 offset1:224
	ds_load_2addr_b32 v[20:21], v17 offset0:24 offset1:224
	ds_load_2addr_b32 v[18:19], v18 offset0:24 offset1:224
	ds_load_2addr_b32 v[16:17], v32 offset0:24 offset1:224
	ds_load_b32 v32, v25
	ds_load_b32 v33, v1 offset:6880
	v_cmp_gt_u32_e64 s0, 0x50, v0
	s_delay_alu instid0(VALU_DEP_1)
	s_and_saveexec_b32 s1, s0
	s_cbranch_execz .LBB0_21
; %bb.20:
	v_add_nc_u32_e32 v12, 0xc0, v1
	ds_load_2addr_stride64_b32 v[10:11], v12 offset0:3 offset1:8
	ds_load_2addr_stride64_b32 v[8:9], v12 offset0:13 offset1:18
	;; [unrolled: 1-line block ×3, first 2 shown]
	s_wait_dscnt 0x2
	v_lshrrev_b32_e32 v27, 16, v10
	v_lshrrev_b32_e32 v29, 16, v11
	s_wait_dscnt 0x1
	v_lshrrev_b32_e32 v30, 16, v8
	s_wait_dscnt 0x0
	v_lshrrev_b32_e32 v28, 16, v12
	v_lshrrev_b32_e32 v31, 16, v13
.LBB0_21:
	s_wait_alu 0xfffe
	s_or_b32 exec_lo, exec_lo, s1
	v_and_b32_e32 v34, 0xff, v0
	v_add_nc_u16 v35, v0, 0x78
	s_wait_dscnt 0x6
	v_lshrrev_b32_e32 v52, 16, v15
	s_wait_dscnt 0x5
	v_lshrrev_b32_e32 v53, 16, v23
	s_wait_dscnt 0x4
	v_lshrrev_b32_e32 v54, 16, v21
	v_mul_lo_u16 v34, 0xcd, v34
	s_wait_dscnt 0x3
	v_lshrrev_b32_e32 v55, 16, v19
	s_wait_dscnt 0x2
	v_lshrrev_b32_e32 v56, 16, v17
	v_lshrrev_b32_e32 v50, 16, v16
	s_wait_dscnt 0x0
	v_lshrrev_b32_e32 v51, 16, v33
	v_lshrrev_b16 v42, 11, v34
	v_and_b32_e32 v34, 0xff, v35
	v_lshrrev_b32_e32 v57, 16, v22
	v_lshrrev_b32_e32 v58, 16, v20
	v_lshrrev_b32_e32 v59, 16, v18
	v_mul_lo_u16 v36, v42, 10
	v_mul_lo_u16 v34, 0xcd, v34
	v_and_b32_e32 v42, 0xffff, v42
	v_lshrrev_b32_e32 v48, 16, v32
	v_lshrrev_b32_e32 v49, 16, v14
	v_sub_nc_u16 v36, v0, v36
	v_lshrrev_b16 v43, 11, v34
	v_mad_u32_u24 v42, 0xf0, v42, 0
	s_delay_alu instid0(VALU_DEP_3) | instskip(NEXT) | instid1(VALU_DEP_3)
	v_and_b32_e32 v44, 0xff, v36
	v_mul_lo_u16 v34, v43, 10
	v_and_b32_e32 v43, 0xffff, v43
	s_delay_alu instid0(VALU_DEP_3) | instskip(NEXT) | instid1(VALU_DEP_3)
	v_mul_u32_u24_e32 v36, 5, v44
	v_sub_nc_u16 v34, v35, v34
	s_delay_alu instid0(VALU_DEP_3) | instskip(SKIP_1) | instid1(VALU_DEP_4)
	v_mad_u32_u24 v43, 0xf0, v43, 0
	v_lshlrev_b32_e32 v44, 2, v44
	v_lshlrev_b32_e32 v38, 2, v36
	s_delay_alu instid0(VALU_DEP_4)
	v_and_b32_e32 v45, 0xff, v34
	s_clause 0x1
	global_load_b128 v[34:37], v38, s[4:5]
	global_load_b32 v46, v38, s[4:5] offset:16
	v_mul_u32_u24_e32 v38, 5, v45
	v_lshlrev_b32_e32 v45, 2, v45
	v_add3_u32 v42, v42, v44, v26
	s_delay_alu instid0(VALU_DEP_3) | instskip(NEXT) | instid1(VALU_DEP_3)
	v_lshlrev_b32_e32 v47, 2, v38
	v_add3_u32 v43, v43, v45, v26
	s_clause 0x1
	global_load_b128 v[38:41], v47, s[4:5]
	global_load_b32 v47, v47, s[4:5] offset:16
	global_wb scope:SCOPE_SE
	s_wait_loadcnt 0x0
	s_barrier_signal -1
	s_barrier_wait -1
	global_inv scope:SCOPE_SE
	v_lshrrev_b32_e32 v44, 16, v34
	v_lshrrev_b32_e32 v45, 16, v35
	;; [unrolled: 1-line block ×5, first 2 shown]
	v_mul_f16_e32 v63, v44, v52
	v_mul_f16_e32 v44, v44, v15
	;; [unrolled: 1-line block ×10, first 2 shown]
	v_lshrrev_b32_e32 v68, 16, v38
	v_lshrrev_b32_e32 v69, 16, v39
	;; [unrolled: 1-line block ×5, first 2 shown]
	v_fmac_f16_e32 v63, v34, v15
	v_fma_f16 v15, v34, v52, -v44
	v_fmac_f16_e32 v64, v35, v23
	v_fma_f16 v23, v35, v53, -v45
	;; [unrolled: 2-line block ×5, first 2 shown]
	v_mul_f16_e32 v34, v68, v57
	v_mul_f16_e32 v35, v68, v22
	;; [unrolled: 1-line block ×10, first 2 shown]
	v_fmac_f16_e32 v34, v38, v22
	v_fma_f16 v22, v38, v57, -v35
	v_fmac_f16_e32 v36, v39, v20
	v_fma_f16 v20, v39, v58, -v37
	;; [unrolled: 2-line block ×5, first 2 shown]
	v_add_f16_e32 v37, v64, v66
	v_sub_f16_e32 v38, v23, v19
	v_add_f16_e32 v39, v48, v23
	v_add_f16_e32 v23, v23, v19
	;; [unrolled: 1-line block ×3, first 2 shown]
	v_sub_f16_e32 v47, v21, v17
	v_add_f16_e32 v50, v15, v21
	v_add_f16_e32 v21, v21, v17
	;; [unrolled: 1-line block ×3, first 2 shown]
	v_sub_f16_e32 v40, v64, v66
	v_add_f16_e32 v41, v63, v65
	v_sub_f16_e32 v51, v65, v67
	v_fmac_f16_e32 v32, -0.5, v37
	v_fmac_f16_e32 v48, -0.5, v23
	;; [unrolled: 1-line block ×4, first 2 shown]
	v_sub_f16_e32 v52, v18, v33
	v_add_f16_e32 v54, v22, v18
	v_add_f16_e32 v18, v18, v33
	;; [unrolled: 1-line block ×8, first 2 shown]
	v_sub_f16_e32 v39, v20, v16
	v_add_f16_e32 v41, v49, v20
	v_add_f16_e32 v20, v20, v16
	;; [unrolled: 1-line block ×4, first 2 shown]
	v_sub_f16_e32 v44, v44, v53
	v_fmamk_f16 v55, v38, 0xbaee, v32
	v_fmac_f16_e32 v32, 0x3aee, v38
	v_fmamk_f16 v38, v40, 0x3aee, v48
	v_fmac_f16_e32 v48, 0xbaee, v40
	;; [unrolled: 2-line block ×3, first 2 shown]
	v_fmamk_f16 v47, v51, 0x3aee, v15
	v_fmac_f16_e32 v22, -0.5, v18
	v_fmac_f16_e32 v15, 0xbaee, v51
	v_sub_f16_e32 v36, v36, v46
	v_add_f16_e32 v51, v35, v23
	v_add_f16_e32 v56, v19, v17
	v_sub_f16_e32 v23, v35, v23
	v_sub_f16_e32 v17, v19, v17
	v_add_f16_e32 v19, v21, v46
	v_fmac_f16_e32 v14, -0.5, v37
	v_add_f16_e32 v16, v41, v16
	v_fmac_f16_e32 v49, -0.5, v20
	;; [unrolled: 2-line block ×3, first 2 shown]
	v_add_f16_e32 v21, v54, v33
	v_mul_f16_e32 v18, 0xbaee, v47
	v_mul_f16_e32 v35, 0.5, v47
	v_fmamk_f16 v41, v44, 0x3aee, v22
	v_fmac_f16_e32 v22, 0xbaee, v44
	v_mul_f16_e32 v33, 0xbaee, v15
	v_mul_f16_e32 v15, -0.5, v15
	v_fmamk_f16 v37, v39, 0xbaee, v14
	v_fmac_f16_e32 v14, 0x3aee, v39
	v_fmamk_f16 v39, v36, 0x3aee, v49
	v_fmac_f16_e32 v49, 0xbaee, v36
	v_fmamk_f16 v36, v52, 0xbaee, v34
	v_add_f16_e32 v44, v19, v20
	v_add_f16_e32 v45, v16, v21
	v_sub_f16_e32 v19, v19, v20
	v_sub_f16_e32 v16, v16, v21
	v_fmac_f16_e32 v18, 0.5, v40
	v_fmac_f16_e32 v35, 0x3aee, v40
	v_mul_f16_e32 v21, 0xbaee, v41
	v_mul_f16_e32 v40, 0.5, v41
	v_fmac_f16_e32 v34, 0x3aee, v52
	v_pack_b32_f16 v17, v23, v17
	v_mul_f16_e32 v23, 0xbaee, v22
	v_mul_f16_e32 v22, -0.5, v22
	v_fmac_f16_e32 v33, -0.5, v63
	v_fmac_f16_e32 v15, 0x3aee, v63
	v_pack_b32_f16 v41, v44, v45
	v_pack_b32_f16 v16, v19, v16
	v_add_f16_e32 v19, v55, v18
	v_add_f16_e32 v45, v38, v35
	v_fmac_f16_e32 v21, 0.5, v36
	v_fmac_f16_e32 v40, 0x3aee, v36
	v_fmac_f16_e32 v23, -0.5, v34
	v_fmac_f16_e32 v22, 0x3aee, v34
	v_add_f16_e32 v44, v32, v33
	v_add_f16_e32 v46, v48, v15
	v_sub_f16_e32 v18, v55, v18
	v_sub_f16_e32 v32, v32, v33
	;; [unrolled: 1-line block ×4, first 2 shown]
	v_pack_b32_f16 v20, v51, v56
	v_add_f16_e32 v34, v37, v21
	v_add_f16_e32 v36, v39, v40
	v_pack_b32_f16 v19, v19, v45
	v_add_f16_e32 v35, v14, v23
	v_add_f16_e32 v38, v49, v22
	v_sub_f16_e32 v21, v37, v21
	v_sub_f16_e32 v14, v14, v23
	;; [unrolled: 1-line block ×4, first 2 shown]
	v_pack_b32_f16 v37, v44, v46
	v_pack_b32_f16 v18, v18, v33
	;; [unrolled: 1-line block ×3, first 2 shown]
	ds_store_2addr_b32 v42, v20, v19 offset1:10
	v_pack_b32_f16 v19, v34, v36
	v_pack_b32_f16 v20, v35, v38
	;; [unrolled: 1-line block ×4, first 2 shown]
	ds_store_2addr_b32 v42, v37, v17 offset0:20 offset1:30
	ds_store_2addr_b32 v42, v18, v15 offset0:40 offset1:50
	ds_store_2addr_b32 v43, v41, v19 offset1:10
	ds_store_2addr_b32 v43, v20, v16 offset0:20 offset1:30
	ds_store_2addr_b32 v43, v21, v14 offset0:40 offset1:50
	s_and_saveexec_b32 s1, s0
	s_cbranch_execz .LBB0_23
; %bb.22:
	v_add_nc_u32_e32 v14, 0xf0, v0
	v_lshrrev_b32_e32 v21, 16, v9
	s_delay_alu instid0(VALU_DEP_2) | instskip(NEXT) | instid1(VALU_DEP_1)
	v_and_b32_e32 v15, 0xffff, v14
	v_mul_u32_u24_e32 v15, 0xcccd, v15
	s_delay_alu instid0(VALU_DEP_1) | instskip(NEXT) | instid1(VALU_DEP_1)
	v_lshrrev_b32_e32 v18, 19, v15
	v_mul_lo_u16 v15, v18, 10
	v_mul_lo_u16 v18, v18, 60
	s_delay_alu instid0(VALU_DEP_2) | instskip(NEXT) | instid1(VALU_DEP_2)
	v_sub_nc_u16 v14, v14, v15
	v_and_b32_e32 v18, 0xffff, v18
	s_delay_alu instid0(VALU_DEP_2) | instskip(NEXT) | instid1(VALU_DEP_2)
	v_and_b32_e32 v19, 0xffff, v14
	v_lshlrev_b32_e32 v18, 2, v18
	s_delay_alu instid0(VALU_DEP_2) | instskip(SKIP_1) | instid1(VALU_DEP_2)
	v_mul_u32_u24_e32 v14, 5, v19
	v_lshl_add_u32 v19, v19, 2, 0
	v_lshlrev_b32_e32 v20, 2, v14
	s_delay_alu instid0(VALU_DEP_2)
	v_add3_u32 v18, v19, v18, v26
	s_clause 0x1
	global_load_b128 v[14:17], v20, s[4:5]
	global_load_b32 v20, v20, s[4:5] offset:16
	s_wait_loadcnt 0x1
	v_lshrrev_b32_e32 v19, 16, v15
	v_lshrrev_b32_e32 v32, 16, v16
	s_wait_loadcnt 0x0
	v_lshrrev_b32_e32 v33, 16, v20
	v_lshrrev_b32_e32 v22, 16, v17
	;; [unrolled: 1-line block ×3, first 2 shown]
	v_mul_f16_e32 v34, v8, v19
	v_mul_f16_e32 v19, v30, v19
	;; [unrolled: 1-line block ×10, first 2 shown]
	v_fmac_f16_e32 v19, v8, v15
	v_fmac_f16_e32 v37, v9, v16
	v_fma_f16 v8, v21, v16, -v32
	v_fma_f16 v9, v31, v20, -v33
	;; [unrolled: 1-line block ×4, first 2 shown]
	v_fmac_f16_e32 v22, v12, v17
	v_fmac_f16_e32 v36, v11, v14
	;; [unrolled: 1-line block ×3, first 2 shown]
	v_fma_f16 v11, v29, v14, -v23
	v_add_f16_e32 v16, v8, v9
	v_add_f16_e32 v12, v30, v28
	v_sub_f16_e32 v13, v19, v22
	v_add_f16_e32 v14, v37, v38
	v_sub_f16_e32 v15, v8, v9
	v_sub_f16_e32 v17, v37, v38
	v_add_f16_e32 v20, v27, v30
	v_add_f16_e32 v8, v11, v8
	;; [unrolled: 1-line block ×4, first 2 shown]
	v_fma_f16 v11, -0.5, v16, v11
	v_add_f16_e32 v29, v36, v37
	v_sub_f16_e32 v23, v30, v28
	v_fma_f16 v12, -0.5, v12, v27
	v_fma_f16 v14, -0.5, v14, v36
	v_add_f16_e32 v16, v20, v28
	v_add_f16_e32 v8, v8, v9
	v_fma_f16 v9, -0.5, v21, v10
	v_add_f16_e32 v10, v19, v22
	v_fmamk_f16 v22, v17, 0xbaee, v11
	v_fmac_f16_e32 v11, 0x3aee, v17
	v_add_f16_e32 v19, v29, v38
	v_fmamk_f16 v20, v13, 0xbaee, v12
	v_fmamk_f16 v21, v15, 0x3aee, v14
	v_fmac_f16_e32 v12, 0x3aee, v13
	v_fmac_f16_e32 v14, 0xbaee, v15
	v_sub_f16_e32 v13, v16, v8
	v_fmamk_f16 v15, v23, 0x3aee, v9
	v_fmac_f16_e32 v9, 0xbaee, v23
	v_add_f16_e32 v8, v16, v8
	v_mul_f16_e32 v16, -0.5, v22
	v_mul_f16_e32 v23, 0.5, v11
	v_mul_f16_e32 v11, 0xbaee, v11
	v_sub_f16_e32 v17, v10, v19
	v_add_f16_e32 v10, v10, v19
	v_mul_f16_e32 v19, 0xbaee, v22
	v_fmac_f16_e32 v16, 0x3aee, v21
	v_fmac_f16_e32 v23, 0x3aee, v14
	v_fmac_f16_e32 v11, 0.5, v14
	v_pack_b32_f16 v8, v10, v8
	v_fmac_f16_e32 v19, -0.5, v21
	v_sub_f16_e32 v10, v20, v16
	v_sub_f16_e32 v14, v12, v23
	v_add_f16_e32 v16, v20, v16
	v_add_f16_e32 v12, v12, v23
	;; [unrolled: 1-line block ×4, first 2 shown]
	v_sub_f16_e32 v9, v9, v11
	v_sub_f16_e32 v11, v15, v19
	v_pack_b32_f16 v13, v17, v13
	v_pack_b32_f16 v12, v20, v12
	v_pack_b32_f16 v15, v21, v16
	v_pack_b32_f16 v9, v9, v14
	v_pack_b32_f16 v10, v11, v10
	ds_store_2addr_b32 v18, v8, v12 offset1:10
	ds_store_2addr_b32 v18, v15, v13 offset0:20 offset1:30
	ds_store_2addr_b32 v18, v9, v10 offset0:40 offset1:50
.LBB0_23:
	s_wait_alu 0xfffe
	s_or_b32 exec_lo, exec_lo, s1
	v_subrev_nc_u32_e32 v8, 60, v0
	v_cmp_gt_u32_e64 s0, 60, v0
	v_dual_mov_b32 v9, 0 :: v_dual_add_nc_u32 v12, 0x400, v1
	global_wb scope:SCOPE_SE
	s_wait_dscnt 0x0
	s_barrier_signal -1
	s_wait_alu 0xf1ff
	v_cndmask_b32_e64 v23, v8, v0, s0
	s_barrier_wait -1
	global_inv scope:SCOPE_SE
	v_add_nc_u32_e32 v13, 0x800, v1
	v_add_nc_u32_e32 v14, 0xc00, v1
	v_mul_i32_i24_e32 v8, 15, v23
	s_delay_alu instid0(VALU_DEP_1) | instskip(SKIP_1) | instid1(VALU_DEP_2)
	v_lshlrev_b64_e32 v[10:11], 2, v[8:9]
	v_add_nc_u32_e32 v8, 0x1000, v1
	v_add_co_u32 v10, s0, s4, v10
	s_wait_alu 0xf1ff
	s_delay_alu instid0(VALU_DEP_3)
	v_add_co_ci_u32_e64 v11, s0, s5, v11, s0
	v_cmp_lt_u32_e64 s0, 59, v0
	s_clause 0x3
	global_load_b128 v[15:18], v[10:11], off offset:200
	global_load_b128 v[19:22], v[10:11], off offset:216
	;; [unrolled: 1-line block ×3, first 2 shown]
	global_load_b96 v[31:33], v[10:11], off offset:248
	ds_load_2addr_b32 v[34:35], v1 offset0:120 offset1:240
	v_add_nc_u32_e32 v10, 0x1400, v1
	v_add_nc_u32_e32 v11, 0x1800, v1
	ds_load_b32 v48, v25
	ds_load_b32 v49, v1 offset:7200
	ds_load_2addr_b32 v[36:37], v12 offset0:104 offset1:224
	ds_load_2addr_b32 v[38:39], v13 offset0:88 offset1:208
	;; [unrolled: 1-line block ×4, first 2 shown]
	s_wait_alu 0xf1ff
	v_cndmask_b32_e64 v50, 0, 0x3c0, s0
	ds_load_2addr_b32 v[44:45], v10 offset0:40 offset1:160
	ds_load_2addr_b32 v[46:47], v11 offset0:24 offset1:144
	v_add_co_u32 v4, s0, s4, v4
	s_wait_alu 0xf1ff
	v_add_co_ci_u32_e64 v5, s0, s5, v5, s0
	v_or_b32_e32 v23, v50, v23
	v_add_co_u32 v6, s0, s4, v6
	s_wait_alu 0xf1ff
	v_add_co_ci_u32_e64 v7, s0, s5, v7, s0
	s_delay_alu instid0(VALU_DEP_3)
	v_lshlrev_b32_e32 v23, 2, v23
	global_wb scope:SCOPE_SE
	s_wait_loadcnt_dscnt 0x0
	s_barrier_signal -1
	s_barrier_wait -1
	v_lshrrev_b32_e32 v51, 16, v34
	v_lshrrev_b32_e32 v52, 16, v35
	v_add3_u32 v23, 0, v23, v26
	v_lshrrev_b32_e32 v26, 16, v37
	v_lshrrev_b32_e32 v64, 16, v36
	;; [unrolled: 1-line block ×14, first 2 shown]
	v_add_nc_u32_e32 v66, 0x400, v23
	v_add_nc_u32_e32 v70, 0xc00, v23
	v_add_nc_u32_e32 v68, 0x800, v23
	v_add_nc_u32_e32 v69, 0xa00, v23
	v_add_nc_u32_e32 v65, 0x200, v23
	v_add_nc_u32_e32 v67, 0x600, v23
	global_inv scope:SCOPE_SE
	v_lshrrev_b32_e32 v71, 16, v15
	v_lshrrev_b32_e32 v72, 16, v16
	;; [unrolled: 1-line block ×15, first 2 shown]
	v_mul_f16_e32 v86, v71, v51
	v_mul_f16_e32 v71, v71, v34
	;; [unrolled: 1-line block ×14, first 2 shown]
	v_fmac_f16_e32 v86, v15, v34
	v_fmac_f16_e32 v87, v16, v35
	v_mul_f16_e32 v34, v57, v78
	v_mul_f16_e32 v35, v41, v78
	;; [unrolled: 1-line block ×4, first 2 shown]
	v_fmac_f16_e32 v88, v17, v36
	v_fmac_f16_e32 v89, v37, v18
	v_mul_f16_e32 v36, v59, v80
	v_mul_f16_e32 v37, v43, v80
	;; [unrolled: 1-line block ×4, first 2 shown]
	v_fma_f16 v15, v15, v51, -v71
	v_mul_f16_e32 v51, v61, v82
	v_mul_f16_e32 v71, v45, v82
	v_fma_f16 v16, v16, v52, -v72
	v_mul_f16_e32 v52, v62, v83
	v_mul_f16_e32 v72, v46, v83
	v_fma_f16 v17, v17, v64, -v73
	v_mul_f16_e32 v64, v63, v84
	v_mul_f16_e32 v73, v47, v84
	v_fma_f16 v18, v26, v18, -v74
	v_mul_f16_e32 v26, v50, v85
	v_mul_f16_e32 v74, v49, v85
	v_fmac_f16_e32 v90, v38, v19
	v_fma_f16 v19, v54, v19, -v75
	v_fmac_f16_e32 v91, v39, v20
	v_fma_f16 v20, v55, v20, -v76
	;; [unrolled: 2-line block ×11, first 2 shown]
	v_sub_f16_e32 v34, v48, v34
	v_sub_f16_e32 v22, v53, v22
	;; [unrolled: 1-line block ×16, first 2 shown]
	v_fma_f16 v41, v48, 2.0, -v34
	v_fma_f16 v43, v89, 2.0, -v35
	;; [unrolled: 1-line block ×12, first 2 shown]
	v_add_f16_e32 v30, v34, v30
	v_sub_f16_e32 v35, v22, v35
	v_add_f16_e32 v32, v36, v32
	v_sub_f16_e32 v37, v28, v37
	;; [unrolled: 2-line block ×4, first 2 shown]
	v_fma_f16 v42, v53, 2.0, -v22
	v_fma_f16 v16, v16, 2.0, -v28
	;; [unrolled: 1-line block ×4, first 2 shown]
	v_sub_f16_e32 v43, v41, v43
	v_fma_f16 v34, v34, 2.0, -v30
	v_fma_f16 v22, v22, 2.0, -v35
	v_sub_f16_e32 v45, v44, v45
	v_fma_f16 v36, v36, 2.0, -v32
	v_fma_f16 v28, v28, 2.0, -v37
	v_sub_f16_e32 v47, v46, v47
	v_fma_f16 v38, v38, 2.0, -v31
	v_fma_f16 v27, v27, 2.0, -v39
	v_sub_f16_e32 v49, v48, v49
	v_fma_f16 v40, v40, 2.0, -v33
	v_fma_f16 v29, v29, 2.0, -v26
	v_fmamk_f16 v50, v32, 0x39a8, v30
	v_fmamk_f16 v51, v37, 0x39a8, v35
	v_sub_f16_e32 v18, v42, v18
	v_sub_f16_e32 v20, v16, v20
	v_sub_f16_e32 v19, v15, v19
	v_sub_f16_e32 v21, v17, v21
	v_fmamk_f16 v52, v33, 0x39a8, v31
	v_fmamk_f16 v53, v26, 0x39a8, v39
	v_fma_f16 v41, v41, 2.0, -v43
	v_fma_f16 v44, v44, 2.0, -v45
	;; [unrolled: 1-line block ×4, first 2 shown]
	v_fmamk_f16 v54, v36, 0xb9a8, v34
	v_fmamk_f16 v55, v28, 0xb9a8, v22
	v_fmac_f16_e32 v50, 0x39a8, v37
	v_fmac_f16_e32 v51, 0xb9a8, v32
	v_fmamk_f16 v32, v40, 0xb9a8, v38
	v_fmamk_f16 v37, v29, 0xb9a8, v27
	v_fma_f16 v16, v16, 2.0, -v20
	v_fma_f16 v17, v17, 2.0, -v21
	v_add_f16_e32 v20, v43, v20
	v_sub_f16_e32 v45, v18, v45
	v_add_f16_e32 v21, v47, v21
	v_sub_f16_e32 v49, v19, v49
	v_fmac_f16_e32 v52, 0x39a8, v26
	v_fmac_f16_e32 v53, 0xb9a8, v33
	v_fma_f16 v42, v42, 2.0, -v18
	v_fma_f16 v15, v15, 2.0, -v19
	v_sub_f16_e32 v26, v41, v44
	v_fmac_f16_e32 v54, 0x39a8, v28
	v_fmac_f16_e32 v55, 0xb9a8, v36
	v_fma_f16 v33, v35, 2.0, -v51
	v_sub_f16_e32 v35, v46, v48
	v_fmac_f16_e32 v32, 0x39a8, v29
	v_fmac_f16_e32 v37, 0xb9a8, v40
	v_fma_f16 v28, v43, 2.0, -v20
	v_fma_f16 v18, v18, 2.0, -v45
	;; [unrolled: 1-line block ×7, first 2 shown]
	v_sub_f16_e32 v16, v42, v16
	v_sub_f16_e32 v17, v15, v17
	v_fmamk_f16 v39, v21, 0x39a8, v20
	v_fmamk_f16 v40, v49, 0x39a8, v45
	;; [unrolled: 1-line block ×4, first 2 shown]
	v_fma_f16 v41, v41, 2.0, -v26
	v_fma_f16 v34, v34, 2.0, -v54
	;; [unrolled: 1-line block ×6, first 2 shown]
	v_fmamk_f16 v47, v29, 0xb9a8, v28
	v_fmamk_f16 v48, v19, 0xb9a8, v18
	;; [unrolled: 1-line block ×6, first 2 shown]
	v_fma_f16 v15, v15, 2.0, -v17
	v_add_f16_e32 v17, v26, v17
	v_sub_f16_e32 v35, v16, v35
	v_fmac_f16_e32 v39, 0x39a8, v49
	v_fmac_f16_e32 v40, 0xb9a8, v21
	;; [unrolled: 1-line block ×4, first 2 shown]
	v_fma_f16 v42, v42, 2.0, -v16
	v_sub_f16_e32 v21, v41, v46
	v_fmamk_f16 v46, v38, 0xbb64, v34
	v_fmamk_f16 v49, v27, 0xbb64, v22
	v_fmac_f16_e32 v47, 0x39a8, v19
	v_fmac_f16_e32 v48, 0xb9a8, v29
	;; [unrolled: 1-line block ×6, first 2 shown]
	v_fma_f16 v19, v26, 2.0, -v17
	v_fma_f16 v16, v16, 2.0, -v35
	v_fma_f16 v20, v20, 2.0, -v39
	v_fma_f16 v26, v45, 2.0, -v40
	v_fma_f16 v29, v50, 2.0, -v43
	v_fma_f16 v31, v51, 2.0, -v44
	v_sub_f16_e32 v15, v42, v15
	v_fmac_f16_e32 v46, 0x361f, v27
	v_fmac_f16_e32 v49, 0xb61f, v38
	v_fma_f16 v27, v28, 2.0, -v47
	v_fma_f16 v18, v18, 2.0, -v48
	;; [unrolled: 1-line block ×6, first 2 shown]
	v_pack_b32_f16 v16, v19, v16
	v_pack_b32_f16 v19, v20, v26
	v_pack_b32_f16 v20, v29, v31
	v_pack_b32_f16 v17, v17, v35
	v_pack_b32_f16 v32, v39, v40
	v_pack_b32_f16 v35, v43, v44
	v_fma_f16 v36, v41, 2.0, -v21
	v_fma_f16 v37, v42, 2.0, -v15
	v_fma_f16 v31, v34, 2.0, -v46
	v_fma_f16 v22, v22, 2.0, -v49
	v_pack_b32_f16 v15, v21, v15
	v_pack_b32_f16 v21, v47, v48
	;; [unrolled: 1-line block ×7, first 2 shown]
	ds_store_2addr_b32 v66, v19, v20 offset0:104 offset1:164
	v_pack_b32_f16 v19, v46, v49
	ds_store_2addr_b32 v70, v32, v35 offset0:72 offset1:132
	v_pack_b32_f16 v32, v36, v37
	v_pack_b32_f16 v20, v31, v22
	ds_store_2addr_b32 v68, v21, v26 offset0:88 offset1:148
	ds_store_2addr_b32 v69, v17, v29 offset0:80 offset1:140
	;; [unrolled: 1-line block ×5, first 2 shown]
	ds_store_2addr_b32 v23, v32, v20 offset1:60
	global_wb scope:SCOPE_SE
	s_wait_dscnt 0x0
	s_barrier_signal -1
	s_barrier_wait -1
	global_inv scope:SCOPE_SE
	s_clause 0x7
	global_load_b32 v22, v[6:7], off offset:6200
	global_load_b32 v23, v[6:7], off offset:6680
	;; [unrolled: 1-line block ×8, first 2 shown]
	ds_load_2addr_b32 v[4:5], v14 offset0:72 offset1:192
	ds_load_2addr_b32 v[6:7], v8 offset0:56 offset1:176
	;; [unrolled: 1-line block ×4, first 2 shown]
	ds_load_b32 v32, v1 offset:7200
	ds_load_b32 v25, v25
	ds_load_2addr_b32 v[18:19], v1 offset0:120 offset1:240
	ds_load_2addr_b32 v[20:21], v12 offset0:104 offset1:224
	;; [unrolled: 1-line block ×3, first 2 shown]
	v_add_nc_u32_e32 v33, 0x200, v1
	v_add_nc_u32_e32 v34, 0x600, v1
	;; [unrolled: 1-line block ×3, first 2 shown]
	global_wb scope:SCOPE_SE
	s_wait_loadcnt_dscnt 0x0
	s_barrier_signal -1
	s_barrier_wait -1
	global_inv scope:SCOPE_SE
	v_pk_mul_f16 v41, v16, v22 op_sel:[0,1]
	v_pk_mul_f16 v42, v17, v23 op_sel:[0,1]
	;; [unrolled: 1-line block ×8, first 2 shown]
	v_pk_fma_f16 v44, v27, v5, v36 op_sel:[0,0,1] op_sel_hi:[1,1,0]
	v_pk_fma_f16 v5, v27, v5, v36 op_sel:[0,0,1] op_sel_hi:[1,0,0] neg_lo:[1,0,0] neg_hi:[1,0,0]
	v_pk_fma_f16 v27, v28, v6, v37 op_sel:[0,0,1] op_sel_hi:[1,1,0]
	v_pk_fma_f16 v6, v28, v6, v37 op_sel:[0,0,1] op_sel_hi:[1,0,0] neg_lo:[1,0,0] neg_hi:[1,0,0]
	;; [unrolled: 2-line block ×8, first 2 shown]
	v_bfi_b32 v5, 0xffff, v44, v5
	v_bfi_b32 v6, 0xffff, v27, v6
	;; [unrolled: 1-line block ×8, first 2 shown]
	v_pk_add_f16 v5, v25, v5 neg_lo:[0,1] neg_hi:[0,1]
	v_pk_add_f16 v6, v18, v6 neg_lo:[0,1] neg_hi:[0,1]
	;; [unrolled: 1-line block ×8, first 2 shown]
	v_pk_fma_f16 v23, v25, 2.0, v5 op_sel_hi:[1,0,1] neg_lo:[0,0,1] neg_hi:[0,0,1]
	v_pk_fma_f16 v18, v18, 2.0, v6 op_sel_hi:[1,0,1] neg_lo:[0,0,1] neg_hi:[0,0,1]
	;; [unrolled: 1-line block ×8, first 2 shown]
	ds_store_2addr_b32 v8, v6, v7 offset0:56 offset1:176
	ds_store_2addr_b32 v10, v14, v15 offset0:40 offset1:160
	;; [unrolled: 1-line block ×3, first 2 shown]
	ds_store_b32 v1, v5 offset:3840
	ds_store_b32 v1, v22 offset:7200
	ds_store_2addr_b32 v1, v23, v18 offset1:120
	ds_store_2addr_b32 v33, v19, v20 offset0:112 offset1:232
	ds_store_2addr_b32 v34, v21, v12 offset0:96 offset1:216
	;; [unrolled: 1-line block ×3, first 2 shown]
	global_wb scope:SCOPE_SE
	s_wait_dscnt 0x0
	s_barrier_signal -1
	s_barrier_wait -1
	global_inv scope:SCOPE_SE
	s_and_saveexec_b32 s0, vcc_lo
	s_cbranch_execz .LBB0_25
; %bb.24:
	v_dual_mov_b32 v1, v9 :: v_dual_add_nc_u32 v8, 0x78, v0
	v_add_co_u32 v31, vcc_lo, s8, v2
	v_lshl_add_u32 v30, v0, 2, v24
	s_delay_alu instid0(VALU_DEP_3) | instskip(NEXT) | instid1(VALU_DEP_4)
	v_lshlrev_b64_e32 v[6:7], 2, v[0:1]
	v_lshlrev_b64_e32 v[1:2], 2, v[8:9]
	v_add_nc_u32_e32 v8, 0xf0, v0
	s_wait_alu 0xfffd
	v_add_co_ci_u32_e32 v32, vcc_lo, s9, v3, vcc_lo
	v_add_nc_u32_e32 v3, 0x200, v30
	v_add_co_u32 v6, vcc_lo, v31, v6
	v_lshlrev_b64_e32 v[10:11], 2, v[8:9]
	v_add_nc_u32_e32 v8, 0x168, v0
	ds_load_2addr_b32 v[12:13], v3 offset0:112 offset1:232
	v_add_nc_u32_e32 v3, 0x600, v30
	s_wait_alu 0xfffd
	v_add_co_ci_u32_e32 v7, vcc_lo, v32, v7, vcc_lo
	v_lshlrev_b64_e32 v[14:15], 2, v[8:9]
	v_add_nc_u32_e32 v8, 0x1e0, v0
	ds_load_2addr_b32 v[4:5], v30 offset1:120
	v_add_co_u32 v1, vcc_lo, v31, v1
	ds_load_2addr_b32 v[18:19], v3 offset0:96 offset1:216
	v_lshlrev_b64_e32 v[16:17], 2, v[8:9]
	v_add_nc_u32_e32 v8, 0x258, v0
	v_add_nc_u32_e32 v3, 0xa00, v30
	s_wait_alu 0xfffd
	v_add_co_ci_u32_e32 v2, vcc_lo, v32, v2, vcc_lo
	v_add_co_u32 v10, vcc_lo, v31, v10
	v_lshlrev_b64_e32 v[20:21], 2, v[8:9]
	v_add_nc_u32_e32 v8, 0x2d0, v0
	s_wait_alu 0xfffd
	v_add_co_ci_u32_e32 v11, vcc_lo, v32, v11, vcc_lo
	v_add_co_u32 v14, vcc_lo, v31, v14
	s_delay_alu instid0(VALU_DEP_3)
	v_lshlrev_b64_e32 v[22:23], 2, v[8:9]
	v_add_nc_u32_e32 v8, 0x348, v0
	ds_load_2addr_b32 v[24:25], v3 offset0:80 offset1:200
	s_wait_alu 0xfffd
	v_add_co_ci_u32_e32 v15, vcc_lo, v32, v15, vcc_lo
	v_add_co_u32 v16, vcc_lo, v31, v16
	s_wait_alu 0xfffd
	v_add_co_ci_u32_e32 v17, vcc_lo, v32, v17, vcc_lo
	v_lshlrev_b64_e32 v[26:27], 2, v[8:9]
	v_add_nc_u32_e32 v8, 0x3c0, v0
	v_add_co_u32 v20, vcc_lo, v31, v20
	s_wait_alu 0xfffd
	v_add_co_ci_u32_e32 v21, vcc_lo, v32, v21, vcc_lo
	v_add_co_u32 v22, vcc_lo, v31, v22
	v_add_nc_u32_e32 v3, 0xe00, v30
	v_lshlrev_b64_e32 v[28:29], 2, v[8:9]
	v_add_nc_u32_e32 v8, 0x438, v0
	s_wait_alu 0xfffd
	v_add_co_ci_u32_e32 v23, vcc_lo, v32, v23, vcc_lo
	v_add_co_u32 v26, vcc_lo, v31, v26
	s_wait_alu 0xfffd
	v_add_co_ci_u32_e32 v27, vcc_lo, v32, v27, vcc_lo
	s_wait_dscnt 0x2
	s_clause 0x3
	global_store_b32 v[6:7], v4, off
	global_store_b32 v[1:2], v5, off
	;; [unrolled: 1-line block ×4, first 2 shown]
	s_wait_dscnt 0x1
	s_clause 0x1
	global_store_b32 v[16:17], v18, off
	global_store_b32 v[20:21], v19, off
	s_wait_dscnt 0x0
	s_clause 0x1
	global_store_b32 v[22:23], v24, off
	global_store_b32 v[26:27], v25, off
	ds_load_2addr_b32 v[1:2], v3 offset0:64 offset1:184
	v_lshlrev_b64_e32 v[3:4], 2, v[8:9]
	v_add_nc_u32_e32 v8, 0x4b0, v0
	v_add_nc_u32_e32 v7, 0x1200, v30
	v_add_co_u32 v5, vcc_lo, v31, v28
	s_wait_alu 0xfffd
	v_add_co_ci_u32_e32 v6, vcc_lo, v32, v29, vcc_lo
	v_lshlrev_b64_e32 v[10:11], 2, v[8:9]
	v_add_nc_u32_e32 v8, 0x528, v0
	ds_load_2addr_b32 v[12:13], v7 offset0:48 offset1:168
	v_add_nc_u32_e32 v7, 0x1600, v30
	v_add_co_u32 v3, vcc_lo, v31, v3
	v_lshlrev_b64_e32 v[14:15], 2, v[8:9]
	v_add_nc_u32_e32 v8, 0x5a0, v0
	ds_load_2addr_b32 v[18:19], v7 offset0:32 offset1:152
	v_add_nc_u32_e32 v7, 0x1a00, v30
	s_wait_alu 0xfffd
	v_add_co_ci_u32_e32 v4, vcc_lo, v32, v4, vcc_lo
	v_lshlrev_b64_e32 v[16:17], 2, v[8:9]
	v_add_nc_u32_e32 v8, 0x618, v0
	v_add_co_u32 v10, vcc_lo, v31, v10
	s_wait_alu 0xfffd
	v_add_co_ci_u32_e32 v11, vcc_lo, v32, v11, vcc_lo
	s_delay_alu instid0(VALU_DEP_3)
	v_lshlrev_b64_e32 v[20:21], 2, v[8:9]
	v_add_nc_u32_e32 v8, 0x690, v0
	v_add_co_u32 v14, vcc_lo, v31, v14
	ds_load_2addr_b32 v[22:23], v7 offset0:16 offset1:136
	s_wait_alu 0xfffd
	v_add_co_ci_u32_e32 v15, vcc_lo, v32, v15, vcc_lo
	v_lshlrev_b64_e32 v[24:25], 2, v[8:9]
	v_add_nc_u32_e32 v8, 0x708, v0
	v_add_co_u32 v16, vcc_lo, v31, v16
	s_wait_alu 0xfffd
	v_add_co_ci_u32_e32 v17, vcc_lo, v32, v17, vcc_lo
	v_add_co_u32 v20, vcc_lo, v31, v20
	v_lshlrev_b64_e32 v[7:8], 2, v[8:9]
	s_wait_alu 0xfffd
	v_add_co_ci_u32_e32 v21, vcc_lo, v32, v21, vcc_lo
	v_add_co_u32 v24, vcc_lo, v31, v24
	s_wait_alu 0xfffd
	v_add_co_ci_u32_e32 v25, vcc_lo, v32, v25, vcc_lo
	v_add_co_u32 v7, vcc_lo, v31, v7
	s_wait_alu 0xfffd
	v_add_co_ci_u32_e32 v8, vcc_lo, v32, v8, vcc_lo
	s_wait_dscnt 0x3
	s_clause 0x1
	global_store_b32 v[5:6], v1, off
	global_store_b32 v[3:4], v2, off
	s_wait_dscnt 0x2
	s_clause 0x1
	global_store_b32 v[10:11], v12, off
	global_store_b32 v[14:15], v13, off
	;; [unrolled: 4-line block ×4, first 2 shown]
.LBB0_25:
	s_nop 0
	s_sendmsg sendmsg(MSG_DEALLOC_VGPRS)
	s_endpgm
	.section	.rodata,"a",@progbits
	.p2align	6, 0x0
	.amdhsa_kernel fft_rtc_back_len1920_factors_10_6_16_2_wgs_240_tpt_120_halfLds_half_ip_CI_unitstride_sbrr_C2R_dirReg
		.amdhsa_group_segment_fixed_size 0
		.amdhsa_private_segment_fixed_size 0
		.amdhsa_kernarg_size 88
		.amdhsa_user_sgpr_count 2
		.amdhsa_user_sgpr_dispatch_ptr 0
		.amdhsa_user_sgpr_queue_ptr 0
		.amdhsa_user_sgpr_kernarg_segment_ptr 1
		.amdhsa_user_sgpr_dispatch_id 0
		.amdhsa_user_sgpr_private_segment_size 0
		.amdhsa_wavefront_size32 1
		.amdhsa_uses_dynamic_stack 0
		.amdhsa_enable_private_segment 0
		.amdhsa_system_sgpr_workgroup_id_x 1
		.amdhsa_system_sgpr_workgroup_id_y 0
		.amdhsa_system_sgpr_workgroup_id_z 0
		.amdhsa_system_sgpr_workgroup_info 0
		.amdhsa_system_vgpr_workitem_id 0
		.amdhsa_next_free_vgpr 93
		.amdhsa_next_free_sgpr 32
		.amdhsa_reserve_vcc 1
		.amdhsa_float_round_mode_32 0
		.amdhsa_float_round_mode_16_64 0
		.amdhsa_float_denorm_mode_32 3
		.amdhsa_float_denorm_mode_16_64 3
		.amdhsa_fp16_overflow 0
		.amdhsa_workgroup_processor_mode 1
		.amdhsa_memory_ordered 1
		.amdhsa_forward_progress 0
		.amdhsa_round_robin_scheduling 0
		.amdhsa_exception_fp_ieee_invalid_op 0
		.amdhsa_exception_fp_denorm_src 0
		.amdhsa_exception_fp_ieee_div_zero 0
		.amdhsa_exception_fp_ieee_overflow 0
		.amdhsa_exception_fp_ieee_underflow 0
		.amdhsa_exception_fp_ieee_inexact 0
		.amdhsa_exception_int_div_zero 0
	.end_amdhsa_kernel
	.text
.Lfunc_end0:
	.size	fft_rtc_back_len1920_factors_10_6_16_2_wgs_240_tpt_120_halfLds_half_ip_CI_unitstride_sbrr_C2R_dirReg, .Lfunc_end0-fft_rtc_back_len1920_factors_10_6_16_2_wgs_240_tpt_120_halfLds_half_ip_CI_unitstride_sbrr_C2R_dirReg
                                        ; -- End function
	.section	.AMDGPU.csdata,"",@progbits
; Kernel info:
; codeLenInByte = 11620
; NumSgprs: 34
; NumVgprs: 93
; ScratchSize: 0
; MemoryBound: 0
; FloatMode: 240
; IeeeMode: 1
; LDSByteSize: 0 bytes/workgroup (compile time only)
; SGPRBlocks: 4
; VGPRBlocks: 11
; NumSGPRsForWavesPerEU: 34
; NumVGPRsForWavesPerEU: 93
; Occupancy: 16
; WaveLimiterHint : 1
; COMPUTE_PGM_RSRC2:SCRATCH_EN: 0
; COMPUTE_PGM_RSRC2:USER_SGPR: 2
; COMPUTE_PGM_RSRC2:TRAP_HANDLER: 0
; COMPUTE_PGM_RSRC2:TGID_X_EN: 1
; COMPUTE_PGM_RSRC2:TGID_Y_EN: 0
; COMPUTE_PGM_RSRC2:TGID_Z_EN: 0
; COMPUTE_PGM_RSRC2:TIDIG_COMP_CNT: 0
	.text
	.p2alignl 7, 3214868480
	.fill 96, 4, 3214868480
	.type	__hip_cuid_63652f1666660c77,@object ; @__hip_cuid_63652f1666660c77
	.section	.bss,"aw",@nobits
	.globl	__hip_cuid_63652f1666660c77
__hip_cuid_63652f1666660c77:
	.byte	0                               ; 0x0
	.size	__hip_cuid_63652f1666660c77, 1

	.ident	"AMD clang version 19.0.0git (https://github.com/RadeonOpenCompute/llvm-project roc-6.4.0 25133 c7fe45cf4b819c5991fe208aaa96edf142730f1d)"
	.section	".note.GNU-stack","",@progbits
	.addrsig
	.addrsig_sym __hip_cuid_63652f1666660c77
	.amdgpu_metadata
---
amdhsa.kernels:
  - .args:
      - .actual_access:  read_only
        .address_space:  global
        .offset:         0
        .size:           8
        .value_kind:     global_buffer
      - .offset:         8
        .size:           8
        .value_kind:     by_value
      - .actual_access:  read_only
        .address_space:  global
        .offset:         16
        .size:           8
        .value_kind:     global_buffer
      - .actual_access:  read_only
        .address_space:  global
        .offset:         24
        .size:           8
        .value_kind:     global_buffer
      - .offset:         32
        .size:           8
        .value_kind:     by_value
      - .actual_access:  read_only
        .address_space:  global
        .offset:         40
        .size:           8
        .value_kind:     global_buffer
      - .actual_access:  read_only
        .address_space:  global
        .offset:         48
        .size:           8
        .value_kind:     global_buffer
      - .offset:         56
        .size:           4
        .value_kind:     by_value
      - .actual_access:  read_only
        .address_space:  global
        .offset:         64
        .size:           8
        .value_kind:     global_buffer
      - .actual_access:  read_only
        .address_space:  global
        .offset:         72
        .size:           8
        .value_kind:     global_buffer
      - .address_space:  global
        .offset:         80
        .size:           8
        .value_kind:     global_buffer
    .group_segment_fixed_size: 0
    .kernarg_segment_align: 8
    .kernarg_segment_size: 88
    .language:       OpenCL C
    .language_version:
      - 2
      - 0
    .max_flat_workgroup_size: 240
    .name:           fft_rtc_back_len1920_factors_10_6_16_2_wgs_240_tpt_120_halfLds_half_ip_CI_unitstride_sbrr_C2R_dirReg
    .private_segment_fixed_size: 0
    .sgpr_count:     34
    .sgpr_spill_count: 0
    .symbol:         fft_rtc_back_len1920_factors_10_6_16_2_wgs_240_tpt_120_halfLds_half_ip_CI_unitstride_sbrr_C2R_dirReg.kd
    .uniform_work_group_size: 1
    .uses_dynamic_stack: false
    .vgpr_count:     93
    .vgpr_spill_count: 0
    .wavefront_size: 32
    .workgroup_processor_mode: 1
amdhsa.target:   amdgcn-amd-amdhsa--gfx1201
amdhsa.version:
  - 1
  - 2
...

	.end_amdgpu_metadata
